;; amdgpu-corpus repo=ROCm/rocFFT kind=compiled arch=gfx1030 opt=O3
	.text
	.amdgcn_target "amdgcn-amd-amdhsa--gfx1030"
	.amdhsa_code_object_version 6
	.protected	fft_rtc_back_len1014_factors_13_6_13_wgs_156_tpt_78_dp_op_CI_CI_unitstride_sbrr_C2R_dirReg ; -- Begin function fft_rtc_back_len1014_factors_13_6_13_wgs_156_tpt_78_dp_op_CI_CI_unitstride_sbrr_C2R_dirReg
	.globl	fft_rtc_back_len1014_factors_13_6_13_wgs_156_tpt_78_dp_op_CI_CI_unitstride_sbrr_C2R_dirReg
	.p2align	8
	.type	fft_rtc_back_len1014_factors_13_6_13_wgs_156_tpt_78_dp_op_CI_CI_unitstride_sbrr_C2R_dirReg,@function
fft_rtc_back_len1014_factors_13_6_13_wgs_156_tpt_78_dp_op_CI_CI_unitstride_sbrr_C2R_dirReg: ; @fft_rtc_back_len1014_factors_13_6_13_wgs_156_tpt_78_dp_op_CI_CI_unitstride_sbrr_C2R_dirReg
; %bb.0:
	s_clause 0x2
	s_load_dwordx4 s[12:15], s[4:5], 0x0
	s_load_dwordx4 s[8:11], s[4:5], 0x58
	;; [unrolled: 1-line block ×3, first 2 shown]
	v_mul_u32_u24_e32 v1, 0x349, v0
	v_mov_b32_e32 v3, 0
	v_lshrrev_b32_e32 v7, 16, v1
	v_mov_b32_e32 v1, 0
	v_mov_b32_e32 v6, v3
	v_mov_b32_e32 v2, 0
	v_lshl_add_u32 v5, s6, 1, v7
	s_waitcnt lgkmcnt(0)
	v_cmp_lt_u64_e64 s0, s[14:15], 2
	s_and_b32 vcc_lo, exec_lo, s0
	s_cbranch_vccnz .LBB0_8
; %bb.1:
	s_load_dwordx2 s[0:1], s[4:5], 0x10
	v_mov_b32_e32 v1, 0
	v_mov_b32_e32 v2, 0
	s_add_u32 s2, s18, 8
	s_addc_u32 s3, s19, 0
	s_add_u32 s6, s16, 8
	s_addc_u32 s7, s17, 0
	v_mov_b32_e32 v73, v2
	v_mov_b32_e32 v72, v1
	s_mov_b64 s[22:23], 1
	s_waitcnt lgkmcnt(0)
	s_add_u32 s20, s0, 8
	s_addc_u32 s21, s1, 0
.LBB0_2:                                ; =>This Inner Loop Header: Depth=1
	s_load_dwordx2 s[24:25], s[20:21], 0x0
                                        ; implicit-def: $vgpr76_vgpr77
	s_mov_b32 s0, exec_lo
	s_waitcnt lgkmcnt(0)
	v_or_b32_e32 v4, s25, v6
	v_cmpx_ne_u64_e32 0, v[3:4]
	s_xor_b32 s1, exec_lo, s0
	s_cbranch_execz .LBB0_4
; %bb.3:                                ;   in Loop: Header=BB0_2 Depth=1
	v_cvt_f32_u32_e32 v4, s24
	v_cvt_f32_u32_e32 v8, s25
	s_sub_u32 s0, 0, s24
	s_subb_u32 s26, 0, s25
	v_fmac_f32_e32 v4, 0x4f800000, v8
	v_rcp_f32_e32 v4, v4
	v_mul_f32_e32 v4, 0x5f7ffffc, v4
	v_mul_f32_e32 v8, 0x2f800000, v4
	v_trunc_f32_e32 v8, v8
	v_fmac_f32_e32 v4, 0xcf800000, v8
	v_cvt_u32_f32_e32 v8, v8
	v_cvt_u32_f32_e32 v4, v4
	v_mul_lo_u32 v9, s0, v8
	v_mul_hi_u32 v10, s0, v4
	v_mul_lo_u32 v11, s26, v4
	v_add_nc_u32_e32 v9, v10, v9
	v_mul_lo_u32 v10, s0, v4
	v_add_nc_u32_e32 v9, v9, v11
	v_mul_hi_u32 v11, v4, v10
	v_mul_lo_u32 v12, v4, v9
	v_mul_hi_u32 v13, v4, v9
	v_mul_hi_u32 v14, v8, v10
	v_mul_lo_u32 v10, v8, v10
	v_mul_hi_u32 v15, v8, v9
	v_mul_lo_u32 v9, v8, v9
	v_add_co_u32 v11, vcc_lo, v11, v12
	v_add_co_ci_u32_e32 v12, vcc_lo, 0, v13, vcc_lo
	v_add_co_u32 v10, vcc_lo, v11, v10
	v_add_co_ci_u32_e32 v10, vcc_lo, v12, v14, vcc_lo
	v_add_co_ci_u32_e32 v11, vcc_lo, 0, v15, vcc_lo
	v_add_co_u32 v9, vcc_lo, v10, v9
	v_add_co_ci_u32_e32 v10, vcc_lo, 0, v11, vcc_lo
	v_add_co_u32 v4, vcc_lo, v4, v9
	v_add_co_ci_u32_e32 v8, vcc_lo, v8, v10, vcc_lo
	v_mul_hi_u32 v9, s0, v4
	v_mul_lo_u32 v11, s26, v4
	v_mul_lo_u32 v10, s0, v8
	v_add_nc_u32_e32 v9, v9, v10
	v_mul_lo_u32 v10, s0, v4
	v_add_nc_u32_e32 v9, v9, v11
	v_mul_hi_u32 v11, v4, v10
	v_mul_lo_u32 v12, v4, v9
	v_mul_hi_u32 v13, v4, v9
	v_mul_hi_u32 v14, v8, v10
	v_mul_lo_u32 v10, v8, v10
	v_mul_hi_u32 v15, v8, v9
	v_mul_lo_u32 v9, v8, v9
	v_add_co_u32 v11, vcc_lo, v11, v12
	v_add_co_ci_u32_e32 v12, vcc_lo, 0, v13, vcc_lo
	v_add_co_u32 v10, vcc_lo, v11, v10
	v_add_co_ci_u32_e32 v10, vcc_lo, v12, v14, vcc_lo
	v_add_co_ci_u32_e32 v11, vcc_lo, 0, v15, vcc_lo
	v_add_co_u32 v9, vcc_lo, v10, v9
	v_add_co_ci_u32_e32 v10, vcc_lo, 0, v11, vcc_lo
	v_add_co_u32 v4, vcc_lo, v4, v9
	v_add_co_ci_u32_e32 v12, vcc_lo, v8, v10, vcc_lo
	v_mul_hi_u32 v14, v5, v4
	v_mad_u64_u32 v[10:11], null, v6, v4, 0
	v_mad_u64_u32 v[8:9], null, v5, v12, 0
	v_mad_u64_u32 v[12:13], null, v6, v12, 0
	v_add_co_u32 v4, vcc_lo, v14, v8
	v_add_co_ci_u32_e32 v8, vcc_lo, 0, v9, vcc_lo
	v_add_co_u32 v4, vcc_lo, v4, v10
	v_add_co_ci_u32_e32 v4, vcc_lo, v8, v11, vcc_lo
	v_add_co_ci_u32_e32 v8, vcc_lo, 0, v13, vcc_lo
	v_add_co_u32 v4, vcc_lo, v4, v12
	v_add_co_ci_u32_e32 v10, vcc_lo, 0, v8, vcc_lo
	v_mul_lo_u32 v11, s25, v4
	v_mad_u64_u32 v[8:9], null, s24, v4, 0
	v_mul_lo_u32 v12, s24, v10
	v_sub_co_u32 v8, vcc_lo, v5, v8
	v_add3_u32 v9, v9, v12, v11
	v_sub_nc_u32_e32 v11, v6, v9
	v_subrev_co_ci_u32_e64 v11, s0, s25, v11, vcc_lo
	v_add_co_u32 v12, s0, v4, 2
	v_add_co_ci_u32_e64 v13, s0, 0, v10, s0
	v_sub_co_u32 v14, s0, v8, s24
	v_sub_co_ci_u32_e32 v9, vcc_lo, v6, v9, vcc_lo
	v_subrev_co_ci_u32_e64 v11, s0, 0, v11, s0
	v_cmp_le_u32_e32 vcc_lo, s24, v14
	v_cmp_eq_u32_e64 s0, s25, v9
	v_cndmask_b32_e64 v14, 0, -1, vcc_lo
	v_cmp_le_u32_e32 vcc_lo, s25, v11
	v_cndmask_b32_e64 v15, 0, -1, vcc_lo
	v_cmp_le_u32_e32 vcc_lo, s24, v8
	;; [unrolled: 2-line block ×3, first 2 shown]
	v_cndmask_b32_e64 v16, 0, -1, vcc_lo
	v_cmp_eq_u32_e32 vcc_lo, s25, v11
	v_cndmask_b32_e64 v8, v16, v8, s0
	v_cndmask_b32_e32 v11, v15, v14, vcc_lo
	v_add_co_u32 v14, vcc_lo, v4, 1
	v_add_co_ci_u32_e32 v15, vcc_lo, 0, v10, vcc_lo
	v_cmp_ne_u32_e32 vcc_lo, 0, v11
	v_cndmask_b32_e32 v9, v15, v13, vcc_lo
	v_cndmask_b32_e32 v11, v14, v12, vcc_lo
	v_cmp_ne_u32_e32 vcc_lo, 0, v8
	v_cndmask_b32_e32 v77, v10, v9, vcc_lo
	v_cndmask_b32_e32 v76, v4, v11, vcc_lo
.LBB0_4:                                ;   in Loop: Header=BB0_2 Depth=1
	s_andn2_saveexec_b32 s0, s1
	s_cbranch_execz .LBB0_6
; %bb.5:                                ;   in Loop: Header=BB0_2 Depth=1
	v_cvt_f32_u32_e32 v4, s24
	s_sub_i32 s1, 0, s24
	v_mov_b32_e32 v77, v3
	v_rcp_iflag_f32_e32 v4, v4
	v_mul_f32_e32 v4, 0x4f7ffffe, v4
	v_cvt_u32_f32_e32 v4, v4
	v_mul_lo_u32 v8, s1, v4
	v_mul_hi_u32 v8, v4, v8
	v_add_nc_u32_e32 v4, v4, v8
	v_mul_hi_u32 v4, v5, v4
	v_mul_lo_u32 v8, v4, s24
	v_add_nc_u32_e32 v9, 1, v4
	v_sub_nc_u32_e32 v8, v5, v8
	v_subrev_nc_u32_e32 v10, s24, v8
	v_cmp_le_u32_e32 vcc_lo, s24, v8
	v_cndmask_b32_e32 v8, v8, v10, vcc_lo
	v_cndmask_b32_e32 v4, v4, v9, vcc_lo
	v_cmp_le_u32_e32 vcc_lo, s24, v8
	v_add_nc_u32_e32 v9, 1, v4
	v_cndmask_b32_e32 v76, v4, v9, vcc_lo
.LBB0_6:                                ;   in Loop: Header=BB0_2 Depth=1
	s_or_b32 exec_lo, exec_lo, s0
	v_mul_lo_u32 v4, v77, s24
	v_mul_lo_u32 v10, v76, s25
	s_load_dwordx2 s[0:1], s[6:7], 0x0
	v_mad_u64_u32 v[8:9], null, v76, s24, 0
	s_load_dwordx2 s[24:25], s[2:3], 0x0
	s_add_u32 s22, s22, 1
	s_addc_u32 s23, s23, 0
	s_add_u32 s2, s2, 8
	s_addc_u32 s3, s3, 0
	s_add_u32 s6, s6, 8
	v_add3_u32 v4, v9, v10, v4
	v_sub_co_u32 v5, vcc_lo, v5, v8
	s_addc_u32 s7, s7, 0
	s_add_u32 s20, s20, 8
	v_sub_co_ci_u32_e32 v4, vcc_lo, v6, v4, vcc_lo
	s_addc_u32 s21, s21, 0
	s_waitcnt lgkmcnt(0)
	v_mul_lo_u32 v6, s0, v4
	v_mul_lo_u32 v8, s1, v5
	v_mad_u64_u32 v[1:2], null, s0, v5, v[1:2]
	v_mul_lo_u32 v4, s24, v4
	v_mul_lo_u32 v9, s25, v5
	v_mad_u64_u32 v[72:73], null, s24, v5, v[72:73]
	v_cmp_ge_u64_e64 s0, s[22:23], s[14:15]
	v_add3_u32 v2, v8, v2, v6
	v_add3_u32 v73, v9, v73, v4
	s_and_b32 vcc_lo, exec_lo, s0
	s_cbranch_vccnz .LBB0_9
; %bb.7:                                ;   in Loop: Header=BB0_2 Depth=1
	v_mov_b32_e32 v5, v76
	v_mov_b32_e32 v6, v77
	s_branch .LBB0_2
.LBB0_8:
	v_mov_b32_e32 v73, v2
	v_mov_b32_e32 v77, v6
	;; [unrolled: 1-line block ×4, first 2 shown]
.LBB0_9:
	s_load_dwordx2 s[0:1], s[4:5], 0x28
	v_and_b32_e32 v3, 1, v7
	v_mul_hi_u32 v4, 0x3483484, v0
	s_lshl_b64 s[4:5], s[14:15], 3
                                        ; implicit-def: $vgpr74
	s_add_u32 s2, s18, s4
	s_addc_u32 s3, s19, s5
	s_waitcnt lgkmcnt(0)
	v_cmp_gt_u64_e32 vcc_lo, s[0:1], v[76:77]
	v_cmp_le_u64_e64 s1, s[0:1], v[76:77]
	v_cmp_eq_u32_e64 s0, 1, v3
	s_and_saveexec_b32 s6, s1
	s_xor_b32 s1, exec_lo, s6
; %bb.10:
	v_mul_u32_u24_e32 v1, 0x4e, v4
                                        ; implicit-def: $vgpr4
	v_sub_nc_u32_e32 v74, v0, v1
                                        ; implicit-def: $vgpr0
                                        ; implicit-def: $vgpr1_vgpr2
; %bb.11:
	s_or_saveexec_b32 s1, s1
	s_load_dwordx2 s[2:3], s[2:3], 0x0
	v_cndmask_b32_e64 v3, 0, 0x3f7, s0
	v_lshlrev_b32_e32 v79, 4, v3
	s_xor_b32 exec_lo, exec_lo, s1
	s_cbranch_execz .LBB0_15
; %bb.12:
	s_add_u32 s4, s16, s4
	s_addc_u32 s5, s17, s5
	v_lshlrev_b64 v[1:2], 4, v[1:2]
	s_load_dwordx2 s[4:5], s[4:5], 0x0
	s_waitcnt lgkmcnt(0)
	v_mul_lo_u32 v7, s5, v76
	v_mul_lo_u32 v8, s4, v77
	v_mad_u64_u32 v[5:6], null, s4, v76, 0
	s_mov_b32 s4, exec_lo
	v_add3_u32 v6, v6, v8, v7
	v_mul_u32_u24_e32 v7, 0x4e, v4
	v_lshlrev_b64 v[4:5], 4, v[5:6]
	v_sub_nc_u32_e32 v74, v0, v7
	v_lshlrev_b32_e32 v56, 4, v74
	v_add_co_u32 v0, s0, s8, v4
	v_add_co_ci_u32_e64 v4, s0, s9, v5, s0
	v_add_co_u32 v0, s0, v0, v1
	v_add_co_ci_u32_e64 v1, s0, v4, v2, s0
	v_add3_u32 v2, 0, v79, v56
	v_add_co_u32 v12, s0, v0, v56
	v_add_co_ci_u32_e64 v13, s0, 0, v1, s0
	s_clause 0x1
	global_load_dwordx4 v[4:7], v[12:13], off
	global_load_dwordx4 v[8:11], v[12:13], off offset:1248
	v_add_co_u32 v16, s0, 0x800, v12
	v_add_co_ci_u32_e64 v17, s0, 0, v13, s0
	v_add_co_u32 v20, s0, 0x1000, v12
	v_add_co_ci_u32_e64 v21, s0, 0, v13, s0
	v_add_co_u32 v28, s0, 0x1800, v12
	v_add_co_ci_u32_e64 v29, s0, 0, v13, s0
	v_add_co_u32 v36, s0, 0x2000, v12
	v_add_co_ci_u32_e64 v37, s0, 0, v13, s0
	v_add_co_u32 v40, s0, 0x2800, v12
	v_add_co_ci_u32_e64 v41, s0, 0, v13, s0
	v_add_co_u32 v48, s0, 0x3000, v12
	v_add_co_ci_u32_e64 v49, s0, 0, v13, s0
	v_add_co_u32 v52, s0, 0x3800, v12
	v_add_co_ci_u32_e64 v53, s0, 0, v13, s0
	s_clause 0xa
	global_load_dwordx4 v[12:15], v[16:17], off offset:448
	global_load_dwordx4 v[16:19], v[16:17], off offset:1696
	;; [unrolled: 1-line block ×11, first 2 shown]
	s_waitcnt vmcnt(12)
	ds_write_b128 v2, v[4:7]
	s_waitcnt vmcnt(11)
	ds_write_b128 v2, v[8:11] offset:1248
	s_waitcnt vmcnt(10)
	ds_write_b128 v2, v[12:15] offset:2496
	;; [unrolled: 2-line block ×12, first 2 shown]
	v_cmpx_eq_u32_e32 0x4d, v74
	s_cbranch_execz .LBB0_14
; %bb.13:
	v_add_co_u32 v0, s0, 0x3800, v0
	v_add_co_ci_u32_e64 v1, s0, 0, v1, s0
	v_mov_b32_e32 v74, 0x4d
	global_load_dwordx4 v[4:7], v[0:1], off offset:1888
	s_waitcnt vmcnt(0)
	ds_write_b128 v2, v[4:7] offset:14992
.LBB0_14:
	s_or_b32 exec_lo, exec_lo, s4
.LBB0_15:
	s_or_b32 exec_lo, exec_lo, s1
	v_lshl_add_u32 v138, v3, 4, 0
	v_lshlrev_b32_e32 v10, 4, v74
	s_waitcnt lgkmcnt(0)
	s_barrier
	buffer_gl0_inv
	s_add_u32 s1, s12, 0x3e90
	v_add_nc_u32_e32 v78, v138, v10
	v_sub_nc_u32_e32 v11, v138, v10
	s_addc_u32 s4, s13, 0
	s_mov_b32 s5, exec_lo
	ds_read_b64 v[6:7], v78
	ds_read_b64 v[8:9], v11 offset:16224
                                        ; implicit-def: $vgpr4_vgpr5
	s_waitcnt lgkmcnt(0)
	v_add_f64 v[0:1], v[6:7], v[8:9]
	v_add_f64 v[2:3], v[6:7], -v[8:9]
	v_cmpx_ne_u32_e32 0, v74
	s_xor_b32 s5, exec_lo, s5
	s_cbranch_execz .LBB0_17
; %bb.16:
	v_mov_b32_e32 v75, 0
	v_add_f64 v[14:15], v[6:7], v[8:9]
	v_add_f64 v[16:17], v[6:7], -v[8:9]
	v_lshlrev_b64 v[0:1], 4, v[74:75]
	v_add_co_u32 v0, s0, s1, v0
	v_add_co_ci_u32_e64 v1, s0, s4, v1, s0
	global_load_dwordx4 v[2:5], v[0:1], off
	ds_read_b64 v[0:1], v11 offset:16232
	ds_read_b64 v[12:13], v78 offset:8
	s_waitcnt lgkmcnt(0)
	v_add_f64 v[6:7], v[0:1], v[12:13]
	v_add_f64 v[0:1], v[12:13], -v[0:1]
	s_waitcnt vmcnt(0)
	v_fma_f64 v[8:9], v[16:17], v[4:5], v[14:15]
	v_fma_f64 v[12:13], -v[16:17], v[4:5], v[14:15]
	v_fma_f64 v[14:15], v[6:7], v[4:5], -v[0:1]
	v_fma_f64 v[4:5], v[6:7], v[4:5], v[0:1]
	v_fma_f64 v[0:1], -v[6:7], v[2:3], v[8:9]
	v_fma_f64 v[6:7], v[6:7], v[2:3], v[12:13]
	v_fma_f64 v[8:9], v[16:17], v[2:3], v[14:15]
	v_fma_f64 v[2:3], v[16:17], v[2:3], v[4:5]
	v_mov_b32_e32 v4, v74
	v_mov_b32_e32 v5, v75
	ds_write_b128 v11, v[6:9] offset:16224
.LBB0_17:
	s_andn2_saveexec_b32 s0, s5
	s_cbranch_execz .LBB0_19
; %bb.18:
	ds_read_b128 v[4:7], v138 offset:8112
	s_waitcnt lgkmcnt(0)
	v_add_f64 v[12:13], v[4:5], v[4:5]
	v_mul_f64 v[14:15], v[6:7], -2.0
	v_mov_b32_e32 v4, 0
	v_mov_b32_e32 v5, 0
	ds_write_b128 v138, v[12:15] offset:8112
.LBB0_19:
	s_or_b32 exec_lo, exec_lo, s0
	v_lshlrev_b64 v[4:5], 4, v[4:5]
	v_add_co_u32 v28, s0, s1, v4
	v_add_co_ci_u32_e64 v29, s0, s4, v5, s0
	s_mov_b32 s1, exec_lo
	v_add_co_u32 v8, s0, 0x800, v28
	global_load_dwordx4 v[4:7], v[28:29], off offset:1248
	v_add_co_ci_u32_e64 v9, s0, 0, v29, s0
	s_clause 0x1
	global_load_dwordx4 v[12:15], v[8:9], off offset:448
	global_load_dwordx4 v[16:19], v[8:9], off offset:1696
	v_add_co_u32 v8, s0, 0x1000, v28
	v_add_co_ci_u32_e64 v9, s0, 0, v29, s0
	ds_write_b128 v78, v[0:3]
	ds_read_b128 v[0:3], v78 offset:1248
	ds_read_b128 v[20:23], v11 offset:14976
	global_load_dwordx4 v[24:27], v[8:9], off offset:896
	s_waitcnt lgkmcnt(0)
	v_add_f64 v[8:9], v[0:1], v[20:21]
	v_add_f64 v[30:31], v[22:23], v[2:3]
	v_add_f64 v[0:1], v[0:1], -v[20:21]
	v_add_f64 v[2:3], v[2:3], -v[22:23]
	s_waitcnt vmcnt(3)
	v_fma_f64 v[20:21], v[0:1], v[6:7], v[8:9]
	v_fma_f64 v[22:23], v[30:31], v[6:7], v[2:3]
	v_fma_f64 v[32:33], -v[0:1], v[6:7], v[8:9]
	v_fma_f64 v[34:35], v[30:31], v[6:7], -v[2:3]
	v_fma_f64 v[6:7], -v[30:31], v[4:5], v[20:21]
	v_fma_f64 v[8:9], v[0:1], v[4:5], v[22:23]
	v_fma_f64 v[2:3], v[30:31], v[4:5], v[32:33]
	;; [unrolled: 1-line block ×3, first 2 shown]
	v_add_co_u32 v0, s0, 0x1800, v28
	v_add_co_ci_u32_e64 v1, s0, 0, v29, s0
	ds_write_b128 v78, v[6:9] offset:1248
	ds_write_b128 v11, v[2:5] offset:14976
	ds_read_b128 v[2:5], v78 offset:2496
	ds_read_b128 v[6:9], v11 offset:13728
	global_load_dwordx4 v[20:23], v[0:1], off offset:96
	s_waitcnt lgkmcnt(0)
	v_add_f64 v[28:29], v[2:3], v[6:7]
	v_add_f64 v[30:31], v[8:9], v[4:5]
	v_add_f64 v[32:33], v[2:3], -v[6:7]
	v_add_f64 v[2:3], v[4:5], -v[8:9]
	s_waitcnt vmcnt(3)
	v_fma_f64 v[4:5], v[32:33], v[14:15], v[28:29]
	v_fma_f64 v[6:7], v[30:31], v[14:15], v[2:3]
	v_fma_f64 v[8:9], -v[32:33], v[14:15], v[28:29]
	v_fma_f64 v[14:15], v[30:31], v[14:15], -v[2:3]
	v_fma_f64 v[2:3], -v[30:31], v[12:13], v[4:5]
	v_fma_f64 v[4:5], v[32:33], v[12:13], v[6:7]
	v_fma_f64 v[6:7], v[30:31], v[12:13], v[8:9]
	v_fma_f64 v[8:9], v[32:33], v[12:13], v[14:15]
	ds_write_b128 v78, v[2:5] offset:2496
	ds_write_b128 v11, v[6:9] offset:13728
	ds_read_b128 v[2:5], v78 offset:3744
	ds_read_b128 v[6:9], v11 offset:12480
	s_waitcnt lgkmcnt(0)
	v_add_f64 v[12:13], v[2:3], v[6:7]
	v_add_f64 v[14:15], v[8:9], v[4:5]
	v_add_f64 v[28:29], v[2:3], -v[6:7]
	v_add_f64 v[2:3], v[4:5], -v[8:9]
	s_waitcnt vmcnt(2)
	v_fma_f64 v[4:5], v[28:29], v[18:19], v[12:13]
	v_fma_f64 v[6:7], v[14:15], v[18:19], v[2:3]
	v_fma_f64 v[8:9], -v[28:29], v[18:19], v[12:13]
	v_fma_f64 v[12:13], v[14:15], v[18:19], -v[2:3]
	v_fma_f64 v[2:3], -v[14:15], v[16:17], v[4:5]
	v_fma_f64 v[4:5], v[28:29], v[16:17], v[6:7]
	v_fma_f64 v[6:7], v[14:15], v[16:17], v[8:9]
	v_fma_f64 v[8:9], v[28:29], v[16:17], v[12:13]
	ds_write_b128 v78, v[2:5] offset:3744
	ds_write_b128 v11, v[6:9] offset:12480
	ds_read_b128 v[2:5], v78 offset:4992
	ds_read_b128 v[6:9], v11 offset:11232
	;; [unrolled: 18-line block ×3, first 2 shown]
	s_waitcnt lgkmcnt(0)
	v_add_f64 v[12:13], v[2:3], v[6:7]
	v_add_f64 v[14:15], v[8:9], v[4:5]
	v_add_f64 v[16:17], v[2:3], -v[6:7]
	v_add_f64 v[2:3], v[4:5], -v[8:9]
	s_waitcnt vmcnt(0)
	v_fma_f64 v[4:5], v[16:17], v[22:23], v[12:13]
	v_fma_f64 v[6:7], v[14:15], v[22:23], v[2:3]
	v_fma_f64 v[8:9], -v[16:17], v[22:23], v[12:13]
	v_fma_f64 v[12:13], v[14:15], v[22:23], -v[2:3]
	v_fma_f64 v[2:3], -v[14:15], v[20:21], v[4:5]
	v_fma_f64 v[4:5], v[16:17], v[20:21], v[6:7]
	v_fma_f64 v[6:7], v[14:15], v[20:21], v[8:9]
	;; [unrolled: 1-line block ×3, first 2 shown]
	ds_write_b128 v78, v[2:5] offset:6240
	ds_write_b128 v11, v[6:9] offset:9984
	v_cmpx_gt_u32_e32 39, v74
	s_cbranch_execz .LBB0_21
; %bb.20:
	global_load_dwordx4 v[0:3], v[0:1], off offset:1344
	ds_read_b128 v[4:7], v78 offset:7488
	ds_read_b128 v[12:15], v11 offset:8736
	s_waitcnt lgkmcnt(0)
	v_add_f64 v[8:9], v[4:5], v[12:13]
	v_add_f64 v[16:17], v[14:15], v[6:7]
	v_add_f64 v[12:13], v[4:5], -v[12:13]
	v_add_f64 v[4:5], v[6:7], -v[14:15]
	s_waitcnt vmcnt(0)
	v_fma_f64 v[6:7], v[12:13], v[2:3], v[8:9]
	v_fma_f64 v[14:15], v[16:17], v[2:3], v[4:5]
	v_fma_f64 v[8:9], -v[12:13], v[2:3], v[8:9]
	v_fma_f64 v[18:19], v[16:17], v[2:3], -v[4:5]
	v_fma_f64 v[2:3], -v[16:17], v[0:1], v[6:7]
	v_fma_f64 v[4:5], v[12:13], v[0:1], v[14:15]
	v_fma_f64 v[6:7], v[16:17], v[0:1], v[8:9]
	v_fma_f64 v[8:9], v[12:13], v[0:1], v[18:19]
	ds_write_b128 v78, v[2:5] offset:7488
	ds_write_b128 v11, v[6:9] offset:8736
.LBB0_21:
	s_or_b32 exec_lo, exec_lo, s1
	v_add3_u32 v75, 0, v10, v79
	s_waitcnt lgkmcnt(0)
	s_barrier
	buffer_gl0_inv
	s_barrier
	buffer_gl0_inv
	ds_read_b128 v[0:3], v78
	ds_read_b128 v[4:7], v75 offset:1248
	ds_read_b128 v[8:11], v75 offset:2496
	;; [unrolled: 1-line block ×7, first 2 shown]
	s_mov_b32 s0, 0x4267c47c
	s_mov_b32 s4, 0xe00740e9
	;; [unrolled: 1-line block ×14, first 2 shown]
	s_waitcnt lgkmcnt(6)
	v_add_f64 v[16:17], v[0:1], v[4:5]
	v_add_f64 v[18:19], v[2:3], v[6:7]
	s_mov_b32 s22, 0xebaa3ed8
	s_mov_b32 s34, 0xb2365da1
	s_waitcnt lgkmcnt(1)
	v_add_f64 v[64:65], v[14:15], v[82:83]
	s_waitcnt lgkmcnt(0)
	v_add_f64 v[50:51], v[26:27], -v[86:87]
	v_add_f64 v[48:49], v[26:27], v[86:87]
	v_add_f64 v[66:67], v[14:15], -v[82:83]
	v_add_f64 v[46:47], v[12:13], v[80:81]
	v_add_f64 v[44:45], v[12:13], -v[80:81]
	s_mov_b32 s7, 0xbfefc445
	s_mov_b32 s21, 0xbfedeba7
	;; [unrolled: 1-line block ×12, first 2 shown]
	v_add_f64 v[16:17], v[16:17], v[8:9]
	v_add_f64 v[18:19], v[18:19], v[10:11]
	s_mov_b32 s31, 0x3fefc445
	s_mov_b32 s37, 0x3fedeba7
	;; [unrolled: 1-line block ×5, first 2 shown]
	v_mul_f64 v[54:55], v[66:67], s[6:7]
	v_mul_f64 v[134:135], v[66:67], s[18:19]
	s_mov_b32 s41, 0x3fcea1e5
	s_mov_b32 s42, s26
	;; [unrolled: 1-line block ×3, first 2 shown]
	v_mul_f64 v[139:140], v[64:65], s[28:29]
	v_mul_f64 v[145:146], v[50:51], s[42:43]
	;; [unrolled: 1-line block ×10, first 2 shown]
	v_add_f64 v[16:17], v[16:17], v[12:13]
	v_add_f64 v[18:19], v[18:19], v[14:15]
	v_mul_f64 v[163:164], v[50:51], s[6:7]
	ds_read_b128 v[20:23], v75 offset:13728
	v_fma_f64 v[173:174], v[46:47], s[22:23], v[54:55]
	v_add_f64 v[28:29], v[16:17], v[24:25]
	v_add_f64 v[34:35], v[18:19], v[26:27]
	ds_read_b128 v[16:19], v75 offset:14976
	ds_read_b128 v[88:91], v75 offset:9984
	;; [unrolled: 1-line block ×4, first 2 shown]
	v_add_f64 v[26:27], v[24:25], v[84:85]
	s_waitcnt lgkmcnt(0)
	s_barrier
	buffer_gl0_inv
	v_add_f64 v[68:69], v[10:11], v[22:23]
	v_add_f64 v[70:71], v[10:11], -v[22:23]
	v_add_f64 v[58:59], v[8:9], v[20:21]
	v_add_f64 v[56:57], v[8:9], -v[20:21]
	v_add_f64 v[8:9], v[30:31], v[88:89]
	v_add_f64 v[52:53], v[28:29], v[30:31]
	;; [unrolled: 1-line block ×3, first 2 shown]
	v_add_f64 v[96:97], v[6:7], -v[18:19]
	v_add_f64 v[98:99], v[6:7], v[18:19]
	v_add_f64 v[28:29], v[24:25], -v[84:85]
	v_add_f64 v[10:11], v[30:31], -v[88:89]
	v_add_f64 v[100:101], v[4:5], v[16:17]
	v_add_f64 v[102:103], v[4:5], -v[16:17]
	v_add_f64 v[14:15], v[42:43], -v[94:95]
	v_add_f64 v[12:13], v[42:43], v[94:95]
	v_add_f64 v[4:5], v[40:41], v[92:93]
	v_add_f64 v[6:7], v[40:41], -v[92:93]
	v_add_f64 v[36:37], v[32:33], v[90:91]
	v_add_f64 v[38:39], v[32:33], -v[90:91]
	v_mul_f64 v[62:63], v[70:71], s[14:15]
	v_mul_f64 v[60:61], v[68:69], s[8:9]
	;; [unrolled: 1-line block ×8, first 2 shown]
	v_add_f64 v[24:25], v[52:53], v[40:41]
	v_add_f64 v[30:31], v[34:35], v[42:43]
	v_mul_f64 v[104:105], v[96:97], s[0:1]
	v_mul_f64 v[106:107], v[98:99], s[4:5]
	;; [unrolled: 1-line block ×15, first 2 shown]
	v_fma_f64 v[165:166], v[58:59], s[8:9], v[62:63]
	v_fma_f64 v[169:170], v[56:57], s[24:25], v[60:61]
	v_fma_f64 v[189:190], v[58:59], s[34:35], v[124:125]
	v_mul_f64 v[34:35], v[36:37], s[38:39]
	v_mul_f64 v[32:33], v[38:39], s[26:27]
	v_add_f64 v[92:93], v[24:25], v[92:93]
	v_add_f64 v[94:95], v[30:31], v[94:95]
	v_fma_f64 v[130:131], v[100:101], s[4:5], v[104:105]
	v_fma_f64 v[136:137], v[102:103], s[16:17], v[106:107]
	v_fma_f64 v[181:182], v[100:101], s[8:9], v[108:109]
	v_fma_f64 v[104:105], v[100:101], s[4:5], -v[104:105]
	v_fma_f64 v[175:176], v[44:45], s[30:31], v[52:53]
	v_fma_f64 v[106:107], v[102:103], s[0:1], v[106:107]
	;; [unrolled: 1-line block ×3, first 2 shown]
	v_fma_f64 v[112:113], v[100:101], s[34:35], -v[112:113]
	v_fma_f64 v[187:188], v[100:101], s[38:39], v[114:115]
	v_fma_f64 v[114:115], v[100:101], s[38:39], -v[114:115]
	v_fma_f64 v[179:180], v[28:29], s[36:37], v[42:43]
	v_mul_f64 v[30:31], v[12:13], s[28:29]
	v_mul_f64 v[24:25], v[14:15], s[18:19]
	v_mul_f64 v[171:172], v[70:71], s[30:31]
	v_fma_f64 v[177:178], v[26:27], s[34:35], v[40:41]
	v_mul_f64 v[70:71], v[70:71], s[16:17]
	v_mul_f64 v[153:154], v[38:39], s[14:15]
	v_fma_f64 v[185:186], v[8:9], s[38:39], v[32:33]
	v_add_f64 v[88:89], v[92:93], v[88:89]
	v_add_f64 v[90:91], v[94:95], v[90:91]
	;; [unrolled: 1-line block ×5, first 2 shown]
	v_mul_f64 v[92:93], v[38:39], s[30:31]
	v_mul_f64 v[94:95], v[36:37], s[22:23]
	v_add_f64 v[104:105], v[0:1], v[104:105]
	v_add_f64 v[183:184], v[0:1], v[183:184]
	;; [unrolled: 1-line block ×7, first 2 shown]
	v_fma_f64 v[90:91], v[102:103], s[24:25], v[116:117]
	v_fma_f64 v[88:89], v[100:101], s[8:9], -v[108:109]
	v_fma_f64 v[108:109], v[100:101], s[22:23], v[110:111]
	v_fma_f64 v[110:111], v[100:101], s[22:23], -v[110:111]
	v_fma_f64 v[116:117], v[102:103], s[14:15], v[116:117]
	v_add_f64 v[130:131], v[165:166], v[130:131]
	v_add_f64 v[136:137], v[169:170], v[136:137]
	v_fma_f64 v[165:166], v[100:101], s[28:29], v[96:97]
	v_fma_f64 v[96:97], v[100:101], s[28:29], -v[96:97]
	v_fma_f64 v[100:101], v[102:103], s[30:31], v[118:119]
	v_fma_f64 v[118:119], v[102:103], s[6:7], v[118:119]
	v_fma_f64 v[169:170], v[102:103], s[36:37], v[120:121]
	v_fma_f64 v[120:121], v[102:103], s[20:21], v[120:121]
	v_add_f64 v[181:182], v[189:190], v[181:182]
	v_fma_f64 v[189:190], v[10:11], s[42:43], v[34:35]
	v_add_f64 v[80:81], v[84:85], v[80:81]
	v_add_f64 v[82:83], v[86:87], v[82:83]
	v_fma_f64 v[84:85], v[56:57], s[36:37], v[126:127]
	v_add_f64 v[86:87], v[2:3], v[90:91]
	v_fma_f64 v[90:91], v[58:59], s[34:35], -v[124:125]
	v_add_f64 v[88:89], v[0:1], v[88:89]
	v_fma_f64 v[124:125], v[56:57], s[20:21], v[126:127]
	v_add_f64 v[116:117], v[2:3], v[116:117]
	v_add_f64 v[130:131], v[173:174], v[130:131]
	v_fma_f64 v[173:174], v[102:103], s[42:43], v[122:123]
	v_fma_f64 v[122:123], v[102:103], s[26:27], v[122:123]
	v_add_f64 v[136:137], v[175:176], v[136:137]
	v_fma_f64 v[175:176], v[102:103], s[40:41], v[98:99]
	v_fma_f64 v[98:99], v[102:103], s[18:19], v[98:99]
	v_fma_f64 v[102:103], v[56:57], s[40:41], v[132:133]
	v_add_f64 v[100:101], v[2:3], v[100:101]
	v_fma_f64 v[126:127], v[58:59], s[28:29], v[128:129]
	v_add_f64 v[108:109], v[0:1], v[108:109]
	v_fma_f64 v[128:129], v[58:59], s[28:29], -v[128:129]
	v_add_f64 v[110:111], v[0:1], v[110:111]
	v_fma_f64 v[132:133], v[56:57], s[18:19], v[132:133]
	v_add_f64 v[118:119], v[2:3], v[118:119]
	v_add_f64 v[169:170], v[2:3], v[169:170]
	;; [unrolled: 1-line block ×5, first 2 shown]
	v_fma_f64 v[86:87], v[46:47], s[28:29], v[134:135]
	v_add_f64 v[88:89], v[90:91], v[88:89]
	v_fma_f64 v[134:135], v[46:47], s[28:29], -v[134:135]
	v_add_f64 v[116:117], v[124:125], v[116:117]
	v_fma_f64 v[124:125], v[44:45], s[40:41], v[139:140]
	v_fma_f64 v[139:140], v[44:45], s[18:19], v[139:140]
	v_add_f64 v[130:131], v[177:178], v[130:131]
	v_add_f64 v[136:137], v[179:180], v[136:137]
	v_fma_f64 v[177:178], v[46:47], s[34:35], v[141:142]
	v_fma_f64 v[179:180], v[44:45], s[20:21], v[143:144]
	v_fma_f64 v[141:142], v[46:47], s[34:35], -v[141:142]
	v_add_f64 v[100:101], v[102:103], v[100:101]
	v_fma_f64 v[102:103], v[26:27], s[38:39], v[145:146]
	v_add_f64 v[108:109], v[126:127], v[108:109]
	v_fma_f64 v[126:127], v[6:7], s[40:41], v[30:31]
	v_fma_f64 v[143:144], v[44:45], s[36:37], v[143:144]
	v_add_f64 v[110:111], v[128:129], v[110:111]
	v_fma_f64 v[128:129], v[28:29], s[26:27], v[147:148]
	v_fma_f64 v[145:146], v[26:27], s[38:39], -v[145:146]
	v_add_f64 v[118:119], v[132:133], v[118:119]
	v_fma_f64 v[132:133], v[26:27], s[4:5], v[149:150]
	v_add_f64 v[165:166], v[0:1], v[165:166]
	v_add_f64 v[86:87], v[86:87], v[181:182]
	v_fma_f64 v[181:182], v[28:29], s[0:1], v[151:152]
	v_add_f64 v[88:89], v[134:135], v[88:89]
	v_fma_f64 v[134:135], v[58:59], s[38:39], v[155:156]
	;; [unrolled: 2-line block ×5, first 2 shown]
	v_fma_f64 v[155:156], v[58:59], s[38:39], -v[155:156]
	v_add_f64 v[100:101], v[179:180], v[100:101]
	v_fma_f64 v[92:93], v[8:9], s[22:23], -v[92:93]
	v_add_f64 v[108:109], v[177:178], v[108:109]
	v_add_f64 v[177:178], v[0:1], v[187:188]
	;; [unrolled: 1-line block ×4, first 2 shown]
	v_fma_f64 v[90:91], v[4:5], s[28:29], v[24:25]
	v_fma_f64 v[147:148], v[28:29], s[42:43], v[147:148]
	v_add_f64 v[110:111], v[143:144], v[118:119]
	v_fma_f64 v[118:119], v[10:11], s[6:7], v[94:95]
	v_add_f64 v[130:131], v[185:186], v[130:131]
	v_add_f64 v[86:87], v[102:103], v[86:87]
	v_fma_f64 v[185:186], v[46:47], s[4:5], v[159:160]
	v_add_f64 v[88:89], v[145:146], v[88:89]
	v_fma_f64 v[157:158], v[56:57], s[42:43], v[157:158]
	v_add_f64 v[84:85], v[128:129], v[84:85]
	v_add_f64 v[120:121], v[2:3], v[120:121]
	;; [unrolled: 1-line block ×5, first 2 shown]
	v_mul_f64 v[126:127], v[36:37], s[8:9]
	v_add_f64 v[122:123], v[2:3], v[122:123]
	v_add_f64 v[175:176], v[2:3], v[175:176]
	;; [unrolled: 1-line block ×7, first 2 shown]
	v_mul_f64 v[82:83], v[68:69], s[22:23]
	v_add_f64 v[100:101], v[181:182], v[100:101]
	v_fma_f64 v[132:133], v[28:29], s[30:31], v[167:168]
	v_mul_f64 v[136:137], v[36:37], s[28:29]
	v_add_f64 v[112:113], v[155:156], v[112:113]
	v_add_f64 v[86:87], v[124:125], v[86:87]
	v_fma_f64 v[124:125], v[28:29], s[16:17], v[151:152]
	v_fma_f64 v[139:140], v[46:47], s[4:5], -v[159:160]
	v_add_f64 v[88:89], v[92:93], v[88:89]
	v_add_f64 v[84:85], v[118:119], v[84:85]
	v_mul_f64 v[68:69], v[68:69], s[4:5]
	v_fma_f64 v[149:150], v[26:27], s[4:5], -v[149:150]
	v_add_f64 v[102:103], v[189:190], v[102:103]
	v_add_f64 v[116:117], v[147:148], v[116:117]
	v_fma_f64 v[118:119], v[10:11], s[24:25], v[126:127]
	v_add_f64 v[20:21], v[90:91], v[130:131]
	v_fma_f64 v[90:91], v[58:59], s[22:23], v[171:172]
	v_mul_f64 v[108:109], v[66:67], s[14:15]
	v_fma_f64 v[94:95], v[10:11], s[30:31], v[94:95]
	v_add_f64 v[98:99], v[185:186], v[98:99]
	v_fma_f64 v[130:131], v[26:27], s[22:23], v[163:164]
	v_mul_f64 v[134:135], v[38:39], s[40:41]
	v_add_f64 v[120:121], v[157:158], v[120:121]
	v_fma_f64 v[141:142], v[44:45], s[16:17], v[161:162]
	v_fma_f64 v[143:144], v[56:57], s[6:7], v[82:83]
	v_mul_f64 v[147:148], v[64:65], s[8:9]
	v_fma_f64 v[151:152], v[58:59], s[22:23], -v[171:172]
	v_fma_f64 v[82:83], v[56:57], s[30:31], v[82:83]
	v_add_f64 v[92:93], v[124:125], v[110:111]
	v_fma_f64 v[110:111], v[10:11], s[14:15], v[126:127]
	v_fma_f64 v[124:125], v[10:11], s[18:19], v[136:137]
	v_add_f64 v[112:113], v[139:140], v[112:113]
	v_fma_f64 v[126:127], v[26:27], s[22:23], -v[163:164]
	v_mul_f64 v[66:67], v[66:67], s[26:27]
	v_add_f64 v[102:103], v[132:133], v[102:103]
	v_mul_f64 v[64:65], v[64:65], s[38:39]
	v_add_f64 v[100:101], v[118:119], v[100:101]
	v_fma_f64 v[118:119], v[58:59], s[4:5], v[70:71]
	v_fma_f64 v[70:71], v[58:59], s[4:5], -v[70:71]
	v_fma_f64 v[58:59], v[58:59], s[8:9], -v[62:63]
	v_add_f64 v[96:97], v[149:150], v[96:97]
	v_add_f64 v[90:91], v[90:91], v[177:178]
	v_fma_f64 v[145:146], v[46:47], s[8:9], v[108:109]
	v_mul_f64 v[149:150], v[50:51], s[40:41]
	v_add_f64 v[94:95], v[94:95], v[116:117]
	v_add_f64 v[98:99], v[130:131], v[98:99]
	v_fma_f64 v[116:117], v[8:9], s[28:29], v[134:135]
	v_add_f64 v[120:121], v[141:142], v[120:121]
	v_fma_f64 v[130:131], v[28:29], s[6:7], v[167:168]
	;; [unrolled: 2-line block ×4, first 2 shown]
	v_fma_f64 v[68:69], v[56:57], s[16:17], v[68:69]
	v_fma_f64 v[56:57], v[56:57], s[14:15], v[60:61]
	v_add_f64 v[114:115], v[151:152], v[114:115]
	v_fma_f64 v[108:109], v[46:47], s[8:9], -v[108:109]
	v_add_f64 v[102:103], v[124:125], v[102:103]
	v_add_f64 v[112:113], v[126:127], v[112:113]
	;; [unrolled: 1-line block ×4, first 2 shown]
	v_mul_f64 v[122:123], v[48:49], s[28:29]
	v_fma_f64 v[124:125], v[44:45], s[14:15], v[147:148]
	v_fma_f64 v[126:127], v[46:47], s[38:39], v[66:67]
	v_add_f64 v[0:1], v[70:71], v[0:1]
	v_fma_f64 v[70:71], v[44:45], s[42:43], v[64:65]
	v_fma_f64 v[66:67], v[46:47], s[38:39], -v[66:67]
	v_mul_f64 v[50:51], v[50:51], s[24:25]
	v_fma_f64 v[64:65], v[44:45], s[26:27], v[64:65]
	v_mul_f64 v[48:49], v[48:49], s[8:9]
	v_add_f64 v[58:59], v[58:59], v[104:105]
	v_fma_f64 v[46:47], v[46:47], s[22:23], -v[54:55]
	v_fma_f64 v[44:45], v[44:45], s[6:7], v[52:53]
	v_fma_f64 v[128:129], v[8:9], s[8:9], v[153:154]
	v_add_f64 v[110:111], v[110:111], v[175:176]
	v_add_f64 v[2:3], v[68:69], v[2:3]
	;; [unrolled: 1-line block ×4, first 2 shown]
	v_fma_f64 v[141:142], v[26:27], s[28:29], v[149:150]
	v_add_f64 v[98:99], v[116:117], v[98:99]
	v_add_f64 v[116:117], v[130:131], v[120:121]
	;; [unrolled: 1-line block ×4, first 2 shown]
	v_fma_f64 v[130:131], v[26:27], s[28:29], -v[149:150]
	v_add_f64 v[82:83], v[124:125], v[82:83]
	v_fma_f64 v[124:125], v[28:29], s[18:19], v[122:123]
	v_add_f64 v[118:119], v[126:127], v[118:119]
	v_mul_f64 v[126:127], v[38:39], s[16:17]
	v_fma_f64 v[122:123], v[28:29], s[40:41], v[122:123]
	v_add_f64 v[0:1], v[66:67], v[0:1]
	v_fma_f64 v[66:67], v[26:27], s[8:9], v[50:51]
	v_mul_f64 v[38:39], v[38:39], s[20:21]
	v_fma_f64 v[50:51], v[26:27], s[8:9], -v[50:51]
	v_add_f64 v[46:47], v[46:47], v[58:59]
	v_fma_f64 v[26:27], v[26:27], s[34:35], -v[40:41]
	v_add_f64 v[80:81], v[128:129], v[80:81]
	v_add_f64 v[70:71], v[70:71], v[110:111]
	v_mul_f64 v[110:111], v[36:37], s[4:5]
	v_add_f64 v[2:3], v[64:65], v[2:3]
	v_fma_f64 v[64:65], v[28:29], s[14:15], v[48:49]
	v_mul_f64 v[36:37], v[36:37], s[34:35]
	v_fma_f64 v[48:49], v[28:29], s[24:25], v[48:49]
	v_add_f64 v[44:45], v[44:45], v[56:57]
	v_fma_f64 v[28:29], v[28:29], s[20:21], v[42:43]
	v_mul_f64 v[128:129], v[14:15], s[16:17]
	v_mul_f64 v[62:63], v[12:13], s[4:5]
	;; [unrolled: 1-line block ×6, first 2 shown]
	v_add_f64 v[90:91], v[141:142], v[90:91]
	v_add_f64 v[40:41], v[124:125], v[120:121]
	v_fma_f64 v[42:43], v[8:9], s[4:5], v[126:127]
	v_mul_f64 v[124:125], v[14:15], s[20:21]
	v_add_f64 v[108:109], v[130:131], v[108:109]
	v_mul_f64 v[130:131], v[12:13], s[34:35]
	v_fma_f64 v[132:133], v[8:9], s[28:29], -v[134:135]
	v_add_f64 v[82:83], v[122:123], v[82:83]
	v_fma_f64 v[122:123], v[8:9], s[4:5], -v[126:127]
	v_fma_f64 v[120:121], v[10:11], s[0:1], v[110:111]
	v_add_f64 v[66:67], v[66:67], v[118:119]
	v_add_f64 v[64:65], v[64:65], v[70:71]
	v_fma_f64 v[70:71], v[8:9], s[34:35], v[38:39]
	v_fma_f64 v[118:119], v[10:11], s[36:37], v[36:37]
	v_mul_f64 v[14:15], v[14:15], s[30:31]
	v_mul_f64 v[12:13], v[12:13], s[22:23]
	v_fma_f64 v[110:111], v[10:11], s[16:17], v[110:111]
	v_add_f64 v[0:1], v[50:51], v[0:1]
	v_add_f64 v[2:3], v[48:49], v[2:3]
	v_fma_f64 v[38:39], v[8:9], s[34:35], -v[38:39]
	v_fma_f64 v[36:37], v[10:11], s[20:21], v[36:37]
	v_fma_f64 v[134:135], v[10:11], s[40:41], v[136:137]
	v_fma_f64 v[153:154], v[8:9], s[8:9], -v[153:154]
	v_add_f64 v[26:27], v[26:27], v[46:47]
	v_add_f64 v[28:29], v[28:29], v[44:45]
	v_fma_f64 v[8:9], v[8:9], s[38:39], -v[32:33]
	v_fma_f64 v[10:11], v[10:11], s[26:27], v[34:35]
	v_fma_f64 v[68:69], v[4:5], s[4:5], v[128:129]
	;; [unrolled: 1-line block ×7, first 2 shown]
	v_add_f64 v[42:43], v[42:43], v[90:91]
	v_add_f64 v[40:41], v[120:121], v[40:41]
	v_fma_f64 v[46:47], v[4:5], s[34:35], v[124:125]
	v_fma_f64 v[50:51], v[6:7], s[36:37], v[130:131]
	v_add_f64 v[32:33], v[132:133], v[112:113]
	v_fma_f64 v[44:45], v[4:5], s[8:9], -v[54:55]
	v_fma_f64 v[54:55], v[6:7], s[24:25], v[56:57]
	v_add_f64 v[56:57], v[122:123], v[108:109]
	v_add_f64 v[66:67], v[70:71], v[66:67]
	;; [unrolled: 1-line block ×3, first 2 shown]
	v_fma_f64 v[70:71], v[4:5], s[22:23], v[14:15]
	v_fma_f64 v[108:109], v[6:7], s[6:7], v[12:13]
	v_add_f64 v[82:83], v[110:111], v[82:83]
	v_add_f64 v[0:1], v[38:39], v[0:1]
	;; [unrolled: 1-line block ×3, first 2 shown]
	v_fma_f64 v[110:111], v[4:5], s[22:23], -v[14:15]
	v_fma_f64 v[112:113], v[6:7], s[30:31], v[12:13]
	v_add_f64 v[34:35], v[134:135], v[116:117]
	v_fma_f64 v[90:91], v[4:5], s[34:35], -v[124:125]
	v_fma_f64 v[116:117], v[6:7], s[20:21], v[130:131]
	v_add_f64 v[96:97], v[153:154], v[96:97]
	v_fma_f64 v[60:61], v[4:5], s[38:39], -v[60:61]
	v_fma_f64 v[114:115], v[6:7], s[26:27], v[114:115]
	v_fma_f64 v[128:129], v[4:5], s[4:5], -v[128:129]
	v_fma_f64 v[62:63], v[6:7], s[16:17], v[62:63]
	v_add_f64 v[118:119], v[8:9], v[26:27]
	v_add_f64 v[120:121], v[10:11], v[28:29]
	v_fma_f64 v[122:123], v[4:5], s[28:29], -v[24:25]
	v_fma_f64 v[124:125], v[6:7], s[18:19], v[30:31]
	v_add_f64 v[4:5], v[68:69], v[86:87]
	v_add_f64 v[6:7], v[104:105], v[84:85]
	v_add_f64 v[12:13], v[106:107], v[80:81]
	v_add_f64 v[14:15], v[52:53], v[100:101]
	v_add_f64 v[28:29], v[58:59], v[98:99]
	v_add_f64 v[30:31], v[48:49], v[102:103]
	v_add_f64 v[36:37], v[46:47], v[42:43]
	v_add_f64 v[38:39], v[50:51], v[40:41]
	v_add_f64 v[32:33], v[44:45], v[32:33]
	v_add_f64 v[44:45], v[70:71], v[66:67]
	v_add_f64 v[46:47], v[108:109], v[64:65]
	v_add_f64 v[48:49], v[110:111], v[0:1]
	v_add_f64 v[50:51], v[112:113], v[2:3]
	v_add_f64 v[40:41], v[90:91], v[56:57]
	v_add_f64 v[42:43], v[116:117], v[82:83]
	v_add_f64 v[34:35], v[54:55], v[34:35]
	v_add_f64 v[24:25], v[60:61], v[96:97]
	v_add_f64 v[26:27], v[114:115], v[92:93]
	v_add_f64 v[8:9], v[128:129], v[88:89]
	v_add_f64 v[10:11], v[62:63], v[94:95]
	v_add_f64 v[0:1], v[122:123], v[118:119]
	v_add_f64 v[2:3], v[124:125], v[120:121]
	v_mad_u32_u24 v52, 0xc0, v74, v75
	ds_write_b128 v52, v[16:19]
	ds_write_b128 v52, v[20:23] offset:16
	ds_write_b128 v52, v[4:7] offset:32
	;; [unrolled: 1-line block ×12, first 2 shown]
	s_waitcnt lgkmcnt(0)
	s_barrier
	buffer_gl0_inv
	ds_read_b128 v[28:31], v78
	ds_read_b128 v[24:27], v75 offset:1248
	ds_read_b128 v[40:43], v75 offset:2704
	;; [unrolled: 1-line block ×11, first 2 shown]
	v_cmp_gt_u32_e64 s0, 13, v74
                                        ; implicit-def: $vgpr22_vgpr23
                                        ; implicit-def: $vgpr14_vgpr15
                                        ; implicit-def: $vgpr18_vgpr19
                                        ; implicit-def: $vgpr10_vgpr11
                                        ; implicit-def: $vgpr6_vgpr7
	s_and_saveexec_b32 s1, s0
	s_cbranch_execz .LBB0_23
; %bb.22:
	ds_read_b128 v[0:3], v75 offset:2496
	ds_read_b128 v[4:7], v75 offset:5200
	;; [unrolled: 1-line block ×6, first 2 shown]
.LBB0_23:
	s_or_b32 exec_lo, exec_lo, s1
	v_and_b32_e32 v80, 0xff, v74
	v_add_nc_u16 v81, v74, 0x4e
	s_mov_b32 s4, 0xe8584caa
	s_mov_b32 s5, 0xbfebb67a
	;; [unrolled: 1-line block ×3, first 2 shown]
	v_mul_lo_u16 v80, 0x4f, v80
	v_and_b32_e32 v82, 0xff, v81
	s_mov_b32 s6, s4
	v_lshrrev_b16 v131, 10, v80
	v_mul_lo_u16 v80, 0x4f, v82
	v_mul_lo_u16 v82, v131, 13
	v_lshrrev_b16 v132, 10, v80
	v_mov_b32_e32 v80, 5
	v_sub_nc_u16 v133, v74, v82
	v_mul_lo_u16 v82, v132, 13
	v_mul_u32_u24_sdwa v83, v133, v80 dst_sel:DWORD dst_unused:UNUSED_PAD src0_sel:BYTE_0 src1_sel:DWORD
	v_sub_nc_u16 v134, v81, v82
	v_lshlrev_b32_e32 v109, 4, v83
	v_mul_u32_u24_sdwa v89, v134, v80 dst_sel:DWORD dst_unused:UNUSED_PAD src0_sel:BYTE_0 src1_sel:DWORD
	s_clause 0x1
	global_load_dwordx4 v[81:84], v109, s[12:13] offset:32
	global_load_dwordx4 v[85:88], v109, s[12:13] offset:64
	v_lshlrev_b32_e32 v117, 4, v89
	s_clause 0x7
	global_load_dwordx4 v[89:92], v117, s[12:13] offset:32
	global_load_dwordx4 v[93:96], v117, s[12:13] offset:64
	global_load_dwordx4 v[97:100], v109, s[12:13]
	global_load_dwordx4 v[101:104], v117, s[12:13]
	global_load_dwordx4 v[105:108], v109, s[12:13] offset:16
	global_load_dwordx4 v[109:112], v109, s[12:13] offset:48
	;; [unrolled: 1-line block ×4, first 2 shown]
	s_waitcnt vmcnt(0) lgkmcnt(0)
	s_barrier
	buffer_gl0_inv
	v_mul_f64 v[125:126], v[56:57], v[91:92]
	v_mul_f64 v[121:122], v[64:65], v[83:84]
	;; [unrolled: 1-line block ×10, first 2 shown]
	v_fma_f64 v[58:59], v[58:59], v[89:90], -v[125:126]
	v_fma_f64 v[66:67], v[66:67], v[81:82], -v[121:122]
	;; [unrolled: 1-line block ×3, first 2 shown]
	v_mul_f64 v[121:122], v[44:45], v[103:104]
	v_fma_f64 v[62:63], v[62:63], v[93:94], -v[127:128]
	v_mul_f64 v[123:124], v[50:51], v[107:108]
	v_mul_f64 v[107:108], v[48:49], v[107:108]
	;; [unrolled: 1-line block ×4, first 2 shown]
	v_fma_f64 v[64:65], v[64:65], v[81:82], v[83:84]
	v_fma_f64 v[68:69], v[68:69], v[85:86], v[87:88]
	v_fma_f64 v[42:43], v[42:43], v[97:98], -v[129:130]
	v_mul_f64 v[103:104], v[46:47], v[103:104]
	v_mul_f64 v[127:128], v[34:35], v[115:116]
	;; [unrolled: 1-line block ×5, first 2 shown]
	v_fma_f64 v[56:57], v[56:57], v[89:90], v[91:92]
	v_fma_f64 v[60:61], v[60:61], v[93:94], v[95:96]
	;; [unrolled: 1-line block ×3, first 2 shown]
	v_add_f64 v[81:82], v[66:67], v[70:71]
	v_fma_f64 v[46:47], v[46:47], v[101:102], -v[121:122]
	v_add_f64 v[89:90], v[58:59], v[62:63]
	v_fma_f64 v[48:49], v[48:49], v[105:106], v[123:124]
	v_fma_f64 v[50:51], v[50:51], v[105:106], -v[107:108]
	v_fma_f64 v[52:53], v[52:53], v[109:110], v[125:126]
	v_fma_f64 v[54:55], v[54:55], v[109:110], -v[111:112]
	v_and_b32_e32 v105, 0xffff, v131
	v_add_f64 v[91:92], v[64:65], v[68:69]
	v_add_f64 v[93:94], v[64:65], -v[68:69]
	v_fma_f64 v[44:45], v[44:45], v[101:102], v[103:104]
	v_fma_f64 v[95:96], v[32:33], v[113:114], v[127:128]
	v_fma_f64 v[33:34], v[34:35], v[113:114], -v[83:84]
	v_fma_f64 v[35:36], v[36:37], v[117:118], v[85:86]
	v_fma_f64 v[37:38], v[38:39], v[117:118], -v[87:88]
	v_mad_u32_u24 v111, 0x4e0, v105, 0
	v_add_f64 v[83:84], v[56:57], v[60:61]
	v_add_f64 v[85:86], v[56:57], -v[60:61]
	v_add_f64 v[103:104], v[66:67], -v[70:71]
	;; [unrolled: 1-line block ×3, first 2 shown]
	v_mov_b32_e32 v32, 4
	v_fma_f64 v[81:82], v[81:82], -0.5, v[42:43]
	v_fma_f64 v[87:88], v[89:90], -0.5, v[46:47]
	v_add_f64 v[89:90], v[28:29], v[48:49]
	v_add_f64 v[101:102], v[30:31], v[50:51]
	;; [unrolled: 1-line block ×3, first 2 shown]
	v_add_f64 v[99:100], v[50:51], -v[54:55]
	v_add_f64 v[50:51], v[50:51], v[54:55]
	v_fma_f64 v[91:92], v[91:92], -0.5, v[40:41]
	v_add_f64 v[39:40], v[40:41], v[64:65]
	v_add_f64 v[41:42], v[42:43], v[66:67]
	v_add_f64 v[48:49], v[48:49], -v[52:53]
	v_add_f64 v[64:65], v[95:96], v[35:36]
	v_add_f64 v[109:110], v[33:34], -v[37:38]
	v_fma_f64 v[83:84], v[83:84], -0.5, v[44:45]
	v_add_f64 v[43:44], v[44:45], v[56:57]
	v_add_f64 v[45:46], v[46:47], v[58:59]
	v_fma_f64 v[105:106], v[93:94], s[6:7], v[81:82]
	v_fma_f64 v[81:82], v[93:94], s[4:5], v[81:82]
	v_add_f64 v[93:94], v[33:34], v[37:38]
	v_fma_f64 v[66:67], v[85:86], s[6:7], v[87:88]
	v_fma_f64 v[85:86], v[85:86], s[4:5], v[87:88]
	v_add_f64 v[87:88], v[24:25], v[95:96]
	v_add_f64 v[33:34], v[26:27], v[33:34]
	v_fma_f64 v[28:29], v[97:98], -0.5, v[28:29]
	v_fma_f64 v[30:31], v[50:51], -0.5, v[30:31]
	v_fma_f64 v[50:51], v[103:104], s[4:5], v[91:92]
	v_fma_f64 v[56:57], v[103:104], s[6:7], v[91:92]
	v_add_f64 v[52:53], v[89:90], v[52:53]
	v_add_f64 v[95:96], v[95:96], -v[35:36]
	v_fma_f64 v[24:25], v[64:65], -0.5, v[24:25]
	v_add_f64 v[54:55], v[101:102], v[54:55]
	v_add_f64 v[39:40], v[39:40], v[68:69]
	v_fma_f64 v[64:65], v[107:108], s[4:5], v[83:84]
	v_fma_f64 v[83:84], v[107:108], s[6:7], v[83:84]
	v_add_f64 v[41:42], v[41:42], v[70:71]
	v_mul_f64 v[58:59], v[105:106], s[4:5]
	v_mul_f64 v[91:92], v[105:106], 0.5
	v_mul_f64 v[89:90], v[81:82], s[4:5]
	v_mul_f64 v[81:82], v[81:82], -0.5
	v_fma_f64 v[26:27], v[93:94], -0.5, v[26:27]
	v_mul_f64 v[93:94], v[66:67], s[4:5]
	v_mul_f64 v[66:67], v[66:67], 0.5
	v_mul_f64 v[97:98], v[85:86], s[4:5]
	v_mul_f64 v[85:86], v[85:86], -0.5
	v_add_f64 v[68:69], v[87:88], v[35:36]
	v_add_f64 v[70:71], v[33:34], v[37:38]
	v_add_f64 v[37:38], v[43:44], v[60:61]
	v_add_f64 v[43:44], v[45:46], v[62:63]
	v_fma_f64 v[60:61], v[99:100], s[4:5], v[28:29]
	v_fma_f64 v[87:88], v[48:49], s[6:7], v[30:31]
	;; [unrolled: 1-line block ×5, first 2 shown]
	v_add_f64 v[28:29], v[52:53], -v[39:40]
	v_add_f64 v[30:31], v[54:55], -v[41:42]
	v_fma_f64 v[58:59], v[50:51], 0.5, v[58:59]
	v_fma_f64 v[91:92], v[50:51], s[6:7], v[91:92]
	v_fma_f64 v[89:90], v[56:57], -0.5, v[89:90]
	v_fma_f64 v[56:57], v[56:57], s[6:7], v[81:82]
	v_fma_f64 v[81:82], v[109:110], s[4:5], v[24:25]
	;; [unrolled: 1-line block ×3, first 2 shown]
	v_fma_f64 v[93:94], v[64:65], 0.5, v[93:94]
	v_fma_f64 v[105:106], v[64:65], s[6:7], v[66:67]
	v_fma_f64 v[95:96], v[95:96], s[4:5], v[26:27]
	v_fma_f64 v[97:98], v[83:84], -0.5, v[97:98]
	v_fma_f64 v[83:84], v[83:84], s[6:7], v[85:86]
	v_add_f64 v[24:25], v[52:53], v[39:40]
	v_add_f64 v[26:27], v[54:55], v[41:42]
	;; [unrolled: 1-line block ×3, first 2 shown]
	v_add_f64 v[39:40], v[70:71], -v[43:44]
	v_add_f64 v[33:34], v[68:69], v[37:38]
	v_add_f64 v[37:38], v[68:69], -v[37:38]
	v_and_b32_e32 v85, 0xffff, v132
	v_lshlrev_b32_sdwa v86, v32, v133 dst_sel:DWORD dst_unused:UNUSED_PAD src0_sel:DWORD src1_sel:BYTE_0
	v_lshlrev_b32_sdwa v70, v32, v134 dst_sel:DWORD dst_unused:UNUSED_PAD src0_sel:DWORD src1_sel:BYTE_0
	v_mad_u32_u24 v69, 0x4e0, v85, 0
	v_add_f64 v[41:42], v[60:61], v[58:59]
	v_add_f64 v[43:44], v[87:88], v[91:92]
	;; [unrolled: 1-line block ×4, first 2 shown]
	v_add_f64 v[49:50], v[60:61], -v[58:59]
	v_add_f64 v[51:52], v[87:88], -v[91:92]
	;; [unrolled: 1-line block ×4, first 2 shown]
	v_add_f64 v[57:58], v[81:82], v[93:94]
	v_add_f64 v[59:60], v[103:104], v[105:106]
	v_add_f64 v[61:62], v[101:102], v[97:98]
	v_add_f64 v[63:64], v[95:96], v[83:84]
	v_add_f64 v[65:66], v[81:82], -v[93:94]
	v_add_f64 v[67:68], v[103:104], -v[105:106]
	v_add_f64 v[81:82], v[101:102], -v[97:98]
	v_add_f64 v[83:84], v[95:96], -v[83:84]
	v_add3_u32 v71, v111, v86, v79
	v_add3_u32 v69, v69, v70, v79
	ds_write_b128 v71, v[24:27]
	ds_write_b128 v71, v[28:31] offset:624
	ds_write_b128 v71, v[41:44] offset:208
	;; [unrolled: 1-line block ×5, first 2 shown]
	ds_write_b128 v69, v[33:36]
	ds_write_b128 v69, v[37:40] offset:624
	ds_write_b128 v69, v[57:60] offset:208
	;; [unrolled: 1-line block ×5, first 2 shown]
	s_and_saveexec_b32 s1, s0
	s_cbranch_execz .LBB0_25
; %bb.24:
	v_add_nc_u16 v24, v74, 0x9c
	v_and_b32_e32 v25, 0xff, v24
	v_mul_lo_u16 v25, 0x4f, v25
	v_lshrrev_b16 v25, 10, v25
	v_mul_lo_u16 v25, v25, 13
	v_sub_nc_u16 v51, v24, v25
	v_mul_u32_u24_sdwa v24, v51, v80 dst_sel:DWORD dst_unused:UNUSED_PAD src0_sel:BYTE_0 src1_sel:DWORD
	v_lshlrev_b32_e32 v41, 4, v24
	s_clause 0x4
	global_load_dwordx4 v[24:27], v41, s[12:13] offset:32
	global_load_dwordx4 v[28:31], v41, s[12:13] offset:64
	global_load_dwordx4 v[33:36], v41, s[12:13]
	global_load_dwordx4 v[37:40], v41, s[12:13] offset:16
	global_load_dwordx4 v[41:44], v41, s[12:13] offset:48
	s_waitcnt vmcnt(4)
	v_mul_f64 v[45:46], v[16:17], v[26:27]
	s_waitcnt vmcnt(3)
	v_mul_f64 v[47:48], v[20:21], v[30:31]
	v_mul_f64 v[26:27], v[18:19], v[26:27]
	;; [unrolled: 1-line block ×3, first 2 shown]
	s_waitcnt vmcnt(2)
	v_mul_f64 v[49:50], v[4:5], v[35:36]
	v_mul_f64 v[35:36], v[6:7], v[35:36]
	v_fma_f64 v[18:19], v[18:19], v[24:25], -v[45:46]
	v_fma_f64 v[22:23], v[22:23], v[28:29], -v[47:48]
	s_waitcnt vmcnt(1)
	v_mul_f64 v[45:46], v[8:9], v[39:40]
	s_waitcnt vmcnt(0)
	v_mul_f64 v[47:48], v[12:13], v[43:44]
	v_fma_f64 v[16:17], v[16:17], v[24:25], v[26:27]
	v_fma_f64 v[20:21], v[20:21], v[28:29], v[30:31]
	v_fma_f64 v[6:7], v[6:7], v[33:34], -v[49:50]
	v_mul_f64 v[26:27], v[10:11], v[39:40]
	v_mul_f64 v[28:29], v[14:15], v[43:44]
	v_fma_f64 v[4:5], v[4:5], v[33:34], v[35:36]
	v_add_f64 v[24:25], v[18:19], v[22:23]
	v_fma_f64 v[10:11], v[10:11], v[37:38], -v[45:46]
	v_fma_f64 v[14:15], v[14:15], v[41:42], -v[47:48]
	v_add_f64 v[30:31], v[16:17], v[20:21]
	v_add_f64 v[33:34], v[16:17], -v[20:21]
	v_fma_f64 v[8:9], v[8:9], v[37:38], v[26:27]
	v_fma_f64 v[12:13], v[12:13], v[41:42], v[28:29]
	v_add_f64 v[28:29], v[18:19], -v[22:23]
	v_fma_f64 v[24:25], v[24:25], -0.5, v[6:7]
	v_add_f64 v[39:40], v[2:3], v[10:11]
	v_add_f64 v[26:27], v[10:11], v[14:15]
	;; [unrolled: 1-line block ×3, first 2 shown]
	v_fma_f64 v[30:31], v[30:31], -0.5, v[4:5]
	v_add_f64 v[4:5], v[4:5], v[16:17]
	v_add_f64 v[10:11], v[10:11], -v[14:15]
	v_add_f64 v[37:38], v[8:9], -v[12:13]
	v_fma_f64 v[35:36], v[33:34], s[4:5], v[24:25]
	v_fma_f64 v[24:25], v[33:34], s[6:7], v[24:25]
	v_add_f64 v[33:34], v[8:9], v[12:13]
	v_add_f64 v[8:9], v[0:1], v[8:9]
	v_fma_f64 v[2:3], v[26:27], -0.5, v[2:3]
	v_fma_f64 v[16:17], v[28:29], s[6:7], v[30:31]
	v_fma_f64 v[18:19], v[28:29], s[4:5], v[30:31]
	v_add_f64 v[14:15], v[39:40], v[14:15]
	v_add_f64 v[6:7], v[6:7], v[22:23]
	;; [unrolled: 1-line block ×3, first 2 shown]
	v_mul_f64 v[26:27], v[35:36], -0.5
	v_mul_f64 v[28:29], v[24:25], 0.5
	v_fma_f64 v[0:1], v[33:34], -0.5, v[0:1]
	v_mul_f64 v[24:25], v[24:25], s[4:5]
	v_mul_f64 v[30:31], v[35:36], s[4:5]
	v_add_f64 v[8:9], v[8:9], v[12:13]
	v_fma_f64 v[12:13], v[37:38], s[4:5], v[2:3]
	v_fma_f64 v[20:21], v[37:38], s[6:7], v[2:3]
	v_add_f64 v[2:3], v[14:15], -v[6:7]
	v_add_f64 v[6:7], v[14:15], v[6:7]
	v_fma_f64 v[22:23], v[16:17], s[6:7], v[26:27]
	v_fma_f64 v[26:27], v[18:19], s[6:7], v[28:29]
	;; [unrolled: 1-line block ×3, first 2 shown]
	v_fma_f64 v[24:25], v[18:19], 0.5, v[24:25]
	v_fma_f64 v[28:29], v[10:11], s[6:7], v[0:1]
	v_fma_f64 v[30:31], v[16:17], -0.5, v[30:31]
	v_add_f64 v[0:1], v[8:9], -v[4:5]
	v_add_f64 v[4:5], v[8:9], v[4:5]
	v_add_f64 v[10:11], v[12:13], -v[22:23]
	v_add_f64 v[14:15], v[20:21], -v[26:27]
	v_add_f64 v[18:19], v[12:13], v[22:23]
	v_add_f64 v[22:23], v[20:21], v[26:27]
	;; [unrolled: 1-line block ×4, first 2 shown]
	v_add_f64 v[12:13], v[33:34], -v[24:25]
	v_add_f64 v[8:9], v[28:29], -v[30:31]
	v_lshlrev_b32_sdwa v24, v32, v51 dst_sel:DWORD dst_unused:UNUSED_PAD src0_sel:DWORD src1_sel:BYTE_0
	v_add3_u32 v24, 0, v24, v79
	ds_write_b128 v24, v[4:7] offset:14976
	ds_write_b128 v24, v[0:3] offset:15600
	;; [unrolled: 1-line block ×6, first 2 shown]
.LBB0_25:
	s_or_b32 exec_lo, exec_lo, s1
	v_mul_u32_u24_e32 v0, 12, v74
	s_waitcnt lgkmcnt(0)
	s_barrier
	buffer_gl0_inv
	s_mov_b32 s28, 0x4267c47c
	v_lshlrev_b32_e32 v52, 4, v0
	s_mov_b32 s26, 0x42a4c3d2
	s_mov_b32 s18, 0x66966769
	;; [unrolled: 1-line block ×4, first 2 shown]
	s_clause 0x9
	global_load_dwordx4 v[4:7], v52, s[12:13] offset:1040
	global_load_dwordx4 v[0:3], v52, s[12:13] offset:1056
	;; [unrolled: 1-line block ×10, first 2 shown]
	ds_read_b128 v[32:35], v75 offset:1248
	ds_read_b128 v[64:67], v78
	ds_read_b128 v[36:39], v75 offset:2496
	s_mov_b32 s40, 0x4bc48dbf
	s_mov_b32 s29, 0xbfddbe06
	;; [unrolled: 1-line block ×27, first 2 shown]
	s_waitcnt vmcnt(9) lgkmcnt(2)
	v_mul_f64 v[40:41], v[34:35], v[6:7]
	v_mul_f64 v[6:7], v[32:33], v[6:7]
	v_fma_f64 v[60:61], v[32:33], v[4:5], v[40:41]
	v_fma_f64 v[62:63], v[34:35], v[4:5], -v[6:7]
	ds_read_b128 v[4:7], v75 offset:3744
	s_waitcnt vmcnt(8) lgkmcnt(1)
	v_mul_f64 v[32:33], v[38:39], v[2:3]
	v_mul_f64 v[2:3], v[36:37], v[2:3]
	v_fma_f64 v[32:33], v[36:37], v[0:1], v[32:33]
	s_waitcnt vmcnt(7) lgkmcnt(0)
	v_mul_f64 v[36:37], v[6:7], v[10:11]
	v_mul_f64 v[10:11], v[4:5], v[10:11]
	v_fma_f64 v[34:35], v[38:39], v[0:1], -v[2:3]
	ds_read_b128 v[0:3], v75 offset:4992
	v_fma_f64 v[36:37], v[4:5], v[8:9], v[36:37]
	v_fma_f64 v[38:39], v[6:7], v[8:9], -v[10:11]
	ds_read_b128 v[4:7], v75 offset:6240
	s_waitcnt vmcnt(6) lgkmcnt(1)
	v_mul_f64 v[8:9], v[2:3], v[14:15]
	v_mul_f64 v[10:11], v[0:1], v[14:15]
	v_fma_f64 v[40:41], v[0:1], v[12:13], v[8:9]
	v_fma_f64 v[42:43], v[2:3], v[12:13], -v[10:11]
	s_waitcnt vmcnt(5) lgkmcnt(0)
	v_mul_f64 v[8:9], v[6:7], v[18:19]
	v_mul_f64 v[10:11], v[4:5], v[18:19]
	ds_read_b128 v[0:3], v75 offset:7488
	v_fma_f64 v[18:19], v[4:5], v[16:17], v[8:9]
	v_fma_f64 v[16:17], v[6:7], v[16:17], -v[10:11]
	ds_read_b128 v[4:7], v75 offset:8736
	s_waitcnt vmcnt(4) lgkmcnt(1)
	v_mul_f64 v[8:9], v[2:3], v[22:23]
	v_mul_f64 v[10:11], v[0:1], v[22:23]
	v_fma_f64 v[22:23], v[0:1], v[20:21], v[8:9]
	v_fma_f64 v[20:21], v[2:3], v[20:21], -v[10:11]
	s_waitcnt vmcnt(3) lgkmcnt(0)
	v_mul_f64 v[8:9], v[6:7], v[26:27]
	v_mul_f64 v[10:11], v[4:5], v[26:27]
	ds_read_b128 v[0:3], v75 offset:9984
	v_fma_f64 v[26:27], v[4:5], v[24:25], v[8:9]
	v_fma_f64 v[24:25], v[6:7], v[24:25], -v[10:11]
	ds_read_b128 v[4:7], v75 offset:11232
	s_waitcnt vmcnt(2) lgkmcnt(1)
	v_mul_f64 v[8:9], v[2:3], v[30:31]
	v_mul_f64 v[10:11], v[0:1], v[30:31]
	v_add_f64 v[153:154], v[22:23], v[26:27]
	v_add_f64 v[159:160], v[22:23], -v[26:27]
	v_fma_f64 v[30:31], v[0:1], v[28:29], v[8:9]
	v_fma_f64 v[28:29], v[2:3], v[28:29], -v[10:11]
	s_waitcnt vmcnt(1) lgkmcnt(0)
	v_mul_f64 v[8:9], v[6:7], v[48:49]
	v_mul_f64 v[10:11], v[4:5], v[48:49]
	ds_read_b128 v[0:3], v75 offset:12480
	v_add_f64 v[143:144], v[16:17], -v[28:29]
	v_fma_f64 v[44:45], v[4:5], v[46:47], v[8:9]
	v_fma_f64 v[46:47], v[6:7], v[46:47], -v[10:11]
	ds_read_b128 v[4:7], v75 offset:13728
	s_waitcnt vmcnt(0) lgkmcnt(1)
	v_mul_f64 v[8:9], v[2:3], v[55:56]
	v_mul_f64 v[10:11], v[0:1], v[55:56]
	v_add_f64 v[147:148], v[16:17], v[28:29]
	v_mul_f64 v[145:146], v[143:144], s[16:17]
	v_add_f64 v[126:127], v[42:43], -v[46:47]
	v_add_f64 v[128:129], v[42:43], v[46:47]
	v_fma_f64 v[48:49], v[0:1], v[53:54], v[8:9]
	v_fma_f64 v[50:51], v[2:3], v[53:54], -v[10:11]
	s_clause 0x1
	global_load_dwordx4 v[0:3], v52, s[12:13] offset:1200
	global_load_dwordx4 v[8:11], v52, s[12:13] offset:1216
	s_mov_b32 s12, 0xb2365da1
	s_mov_b32 s13, 0xbfd6b1d8
	v_mul_f64 v[149:150], v[147:148], s[20:21]
	v_mul_f64 v[139:140], v[126:127], s[6:7]
	;; [unrolled: 1-line block ×3, first 2 shown]
	s_waitcnt vmcnt(1) lgkmcnt(0)
	v_mul_f64 v[12:13], v[6:7], v[2:3]
	v_mul_f64 v[2:3], v[4:5], v[2:3]
	v_fma_f64 v[52:53], v[4:5], v[0:1], v[12:13]
	v_fma_f64 v[54:55], v[6:7], v[0:1], -v[2:3]
	ds_read_b128 v[0:3], v75 offset:14976
	s_waitcnt vmcnt(0) lgkmcnt(0)
	s_barrier
	buffer_gl0_inv
	v_mul_f64 v[4:5], v[0:1], v[10:11]
	v_fma_f64 v[56:57], v[2:3], v[8:9], -v[4:5]
	v_mul_f64 v[2:3], v[2:3], v[10:11]
	v_fma_f64 v[58:59], v[0:1], v[8:9], v[2:3]
	v_add_f64 v[0:1], v[62:63], -v[56:57]
	v_add_f64 v[12:13], v[60:61], v[58:59]
	v_mul_f64 v[2:3], v[0:1], s[28:29]
	v_mul_f64 v[4:5], v[0:1], s[26:27]
	;; [unrolled: 1-line block ×6, first 2 shown]
	v_add_f64 v[94:95], v[60:61], -v[58:59]
	v_add_f64 v[60:61], v[64:65], v[60:61]
	v_fma_f64 v[14:15], v[12:13], s[14:15], v[2:3]
	v_fma_f64 v[2:3], v[12:13], s[14:15], -v[2:3]
	v_fma_f64 v[68:69], v[12:13], s[8:9], v[4:5]
	v_fma_f64 v[4:5], v[12:13], s[8:9], -v[4:5]
	v_fma_f64 v[70:71], v[12:13], s[0:1], v[6:7]
	v_fma_f64 v[90:91], v[12:13], s[34:35], v[0:1]
	v_fma_f64 v[92:93], v[12:13], s[34:35], -v[0:1]
	v_add_f64 v[0:1], v[62:63], v[56:57]
	v_fma_f64 v[6:7], v[12:13], s[0:1], -v[6:7]
	v_fma_f64 v[78:79], v[12:13], s[12:13], v[8:9]
	v_fma_f64 v[80:81], v[12:13], s[12:13], -v[8:9]
	v_fma_f64 v[82:83], v[12:13], s[20:21], v[10:11]
	v_fma_f64 v[84:85], v[12:13], s[20:21], -v[10:11]
	v_add_f64 v[62:63], v[66:67], v[62:63]
	v_add_f64 v[122:123], v[64:65], v[14:15]
	;; [unrolled: 1-line block ×6, first 2 shown]
	v_add_f64 v[90:91], v[34:35], -v[54:55]
	v_mul_f64 v[8:9], v[0:1], s[14:15]
	v_mul_f64 v[10:11], v[0:1], s[8:9]
	;; [unrolled: 1-line block ×6, first 2 shown]
	v_add_f64 v[106:107], v[64:65], v[6:7]
	v_add_f64 v[84:85], v[64:65], v[84:85]
	v_fma_f64 v[96:97], v[94:95], s[24:25], v[8:9]
	v_fma_f64 v[8:9], v[94:95], s[28:29], v[8:9]
	;; [unrolled: 1-line block ×12, first 2 shown]
	v_add_f64 v[10:11], v[64:65], v[4:5]
	v_add_f64 v[88:89], v[64:65], v[82:83]
	;; [unrolled: 1-line block ×10, first 2 shown]
	v_mul_f64 v[118:119], v[90:91], s[26:27]
	v_add_f64 v[114:115], v[38:39], -v[50:51]
	v_add_f64 v[110:111], v[66:67], v[102:103]
	v_add_f64 v[96:97], v[64:65], v[80:81]
	;; [unrolled: 1-line block ×10, first 2 shown]
	v_add_f64 v[80:81], v[32:33], -v[52:53]
	v_add_f64 v[116:117], v[38:39], v[50:51]
	v_add_f64 v[32:33], v[60:61], v[32:33]
	;; [unrolled: 1-line block ×3, first 2 shown]
	v_fma_f64 v[4:5], v[78:79], s[8:9], v[118:119]
	v_mul_f64 v[130:131], v[114:115], s[18:19]
	v_fma_f64 v[118:119], v[78:79], s[8:9], -v[118:119]
	v_mul_f64 v[120:121], v[92:93], s[8:9]
	v_mul_f64 v[132:133], v[116:117], s[0:1]
	v_add_f64 v[32:33], v[32:33], v[36:37]
	v_add_f64 v[34:35], v[34:35], v[38:39]
	;; [unrolled: 1-line block ×3, first 2 shown]
	v_fma_f64 v[108:109], v[102:103], s[0:1], v[130:131]
	v_add_f64 v[2:3], v[118:119], v[2:3]
	v_fma_f64 v[6:7], v[80:81], s[22:23], v[120:121]
	v_fma_f64 v[118:119], v[80:81], s[26:27], v[120:121]
	v_add_f64 v[32:33], v[32:33], v[40:41]
	v_add_f64 v[34:35], v[34:35], v[42:43]
	;; [unrolled: 1-line block ×3, first 2 shown]
	v_add_f64 v[108:109], v[36:37], -v[48:49]
	v_add_f64 v[6:7], v[6:7], v[124:125]
	v_add_f64 v[0:1], v[118:119], v[0:1]
	v_fma_f64 v[118:119], v[102:103], s[0:1], -v[130:131]
	v_add_f64 v[16:17], v[34:35], v[16:17]
	v_fma_f64 v[122:123], v[108:109], s[4:5], v[132:133]
	v_add_f64 v[2:3], v[118:119], v[2:3]
	v_fma_f64 v[118:119], v[108:109], s[18:19], v[132:133]
	v_add_f64 v[16:17], v[16:17], v[20:21]
	v_add_f64 v[6:7], v[122:123], v[6:7]
	;; [unrolled: 1-line block ×5, first 2 shown]
	v_fma_f64 v[124:125], v[122:123], s[12:13], v[139:140]
	v_fma_f64 v[118:119], v[122:123], s[12:13], -v[139:140]
	v_add_f64 v[16:17], v[16:17], v[28:29]
	v_add_f64 v[4:5], v[124:125], v[4:5]
	v_add_f64 v[124:125], v[40:41], -v[44:45]
	v_add_f64 v[2:3], v[118:119], v[2:3]
	v_add_f64 v[16:17], v[16:17], v[46:47]
	v_fma_f64 v[134:135], v[124:125], s[30:31], v[141:142]
	v_fma_f64 v[118:119], v[124:125], s[6:7], v[141:142]
	v_add_f64 v[16:17], v[16:17], v[50:51]
	v_add_f64 v[6:7], v[134:135], v[6:7]
	;; [unrolled: 1-line block ×4, first 2 shown]
	v_fma_f64 v[136:137], v[134:135], s[20:21], v[145:146]
	v_fma_f64 v[118:119], v[134:135], s[20:21], -v[145:146]
	v_add_f64 v[4:5], v[136:137], v[4:5]
	v_add_f64 v[136:137], v[18:19], -v[30:31]
	v_add_f64 v[2:3], v[118:119], v[2:3]
	v_add_f64 v[18:19], v[32:33], v[18:19]
	v_fma_f64 v[151:152], v[136:137], s[36:37], v[149:150]
	v_fma_f64 v[118:119], v[136:137], s[16:17], v[149:150]
	v_add_f64 v[18:19], v[18:19], v[22:23]
	v_add_f64 v[6:7], v[151:152], v[6:7]
	v_add_f64 v[151:152], v[20:21], -v[24:25]
	v_add_f64 v[118:119], v[118:119], v[0:1]
	v_add_f64 v[18:19], v[18:19], v[26:27]
	v_mul_f64 v[155:156], v[151:152], s[40:41]
	v_add_f64 v[18:19], v[18:19], v[30:31]
	v_fma_f64 v[157:158], v[153:154], s[34:35], v[155:156]
	v_fma_f64 v[0:1], v[153:154], s[34:35], -v[155:156]
	v_add_f64 v[18:19], v[18:19], v[44:45]
	v_add_f64 v[4:5], v[157:158], v[4:5]
	v_add_f64 v[157:158], v[20:21], v[24:25]
	v_add_f64 v[0:1], v[0:1], v[2:3]
	v_add_f64 v[18:19], v[18:19], v[48:49]
	v_add_f64 v[20:21], v[16:17], v[54:55]
	v_mul_f64 v[161:162], v[157:158], s[34:35]
	v_add_f64 v[18:19], v[18:19], v[52:53]
	v_fma_f64 v[120:121], v[159:160], s[40:41], v[161:162]
	v_fma_f64 v[163:164], v[159:160], s[38:39], v[161:162]
	v_mul_f64 v[161:162], v[151:152], s[24:25]
	v_add_f64 v[16:17], v[18:19], v[58:59]
	v_add_f64 v[18:19], v[20:21], v[56:57]
	;; [unrolled: 1-line block ×3, first 2 shown]
	v_mul_f64 v[118:119], v[90:91], s[6:7]
	v_add_f64 v[6:7], v[163:164], v[6:7]
	v_mul_f64 v[163:164], v[157:158], s[14:15]
	v_fma_f64 v[120:121], v[78:79], s[12:13], v[118:119]
	v_fma_f64 v[118:119], v[78:79], s[12:13], -v[118:119]
	v_add_f64 v[14:15], v[120:121], v[14:15]
	v_mul_f64 v[120:121], v[92:93], s[12:13]
	v_add_f64 v[10:11], v[118:119], v[10:11]
	v_fma_f64 v[130:131], v[80:81], s[30:31], v[120:121]
	v_fma_f64 v[118:119], v[80:81], s[6:7], v[120:121]
	;; [unrolled: 1-line block ×3, first 2 shown]
	v_add_f64 v[12:13], v[130:131], v[12:13]
	v_mul_f64 v[130:131], v[114:115], s[40:41]
	v_add_f64 v[8:9], v[118:119], v[8:9]
	v_fma_f64 v[132:133], v[102:103], s[34:35], v[130:131]
	v_fma_f64 v[118:119], v[102:103], s[34:35], -v[130:131]
	v_add_f64 v[14:15], v[132:133], v[14:15]
	v_mul_f64 v[132:133], v[116:117], s[34:35]
	v_add_f64 v[10:11], v[118:119], v[10:11]
	v_fma_f64 v[139:140], v[108:109], s[38:39], v[132:133]
	v_fma_f64 v[118:119], v[108:109], s[40:41], v[132:133]
	v_add_f64 v[12:13], v[139:140], v[12:13]
	v_mul_f64 v[139:140], v[126:127], s[36:37]
	v_add_f64 v[8:9], v[118:119], v[8:9]
	v_fma_f64 v[141:142], v[122:123], s[20:21], v[139:140]
	v_fma_f64 v[118:119], v[122:123], s[20:21], -v[139:140]
	v_add_f64 v[14:15], v[141:142], v[14:15]
	v_mul_f64 v[141:142], v[128:129], s[20:21]
	v_add_f64 v[10:11], v[118:119], v[10:11]
	v_fma_f64 v[145:146], v[124:125], s[16:17], v[141:142]
	v_fma_f64 v[118:119], v[124:125], s[36:37], v[141:142]
	;; [unrolled: 10-line block ×3, first 2 shown]
	v_add_f64 v[118:119], v[118:119], v[8:9]
	v_fma_f64 v[8:9], v[153:154], s[14:15], -v[161:162]
	v_add_f64 v[155:156], v[155:156], v[12:13]
	v_fma_f64 v[12:13], v[153:154], s[14:15], v[161:162]
	v_mul_f64 v[161:162], v[151:152], s[16:17]
	v_add_f64 v[8:9], v[8:9], v[10:11]
	v_add_f64 v[10:11], v[120:121], v[118:119]
	v_mul_f64 v[118:119], v[90:91], s[40:41]
	v_add_f64 v[12:13], v[12:13], v[14:15]
	v_fma_f64 v[14:15], v[159:160], s[28:29], v[163:164]
	v_mul_f64 v[163:164], v[157:158], s[20:21]
	v_fma_f64 v[120:121], v[78:79], s[34:35], v[118:119]
	v_fma_f64 v[118:119], v[78:79], s[34:35], -v[118:119]
	v_add_f64 v[14:15], v[14:15], v[155:156]
	v_add_f64 v[112:113], v[120:121], v[112:113]
	v_mul_f64 v[120:121], v[92:93], s[34:35]
	v_add_f64 v[106:107], v[118:119], v[106:107]
	v_fma_f64 v[130:131], v[80:81], s[38:39], v[120:121]
	v_fma_f64 v[118:119], v[80:81], s[40:41], v[120:121]
	;; [unrolled: 1-line block ×3, first 2 shown]
	v_add_f64 v[110:111], v[130:131], v[110:111]
	v_mul_f64 v[130:131], v[114:115], s[30:31]
	v_add_f64 v[104:105], v[118:119], v[104:105]
	v_fma_f64 v[132:133], v[102:103], s[12:13], v[130:131]
	v_fma_f64 v[118:119], v[102:103], s[12:13], -v[130:131]
	v_add_f64 v[112:113], v[132:133], v[112:113]
	v_mul_f64 v[132:133], v[116:117], s[12:13]
	v_add_f64 v[106:107], v[118:119], v[106:107]
	v_fma_f64 v[139:140], v[108:109], s[6:7], v[132:133]
	v_fma_f64 v[118:119], v[108:109], s[30:31], v[132:133]
	v_add_f64 v[110:111], v[139:140], v[110:111]
	v_mul_f64 v[139:140], v[126:127], s[24:25]
	v_add_f64 v[104:105], v[118:119], v[104:105]
	v_fma_f64 v[141:142], v[122:123], s[14:15], v[139:140]
	v_fma_f64 v[118:119], v[122:123], s[14:15], -v[139:140]
	v_add_f64 v[112:113], v[141:142], v[112:113]
	v_mul_f64 v[141:142], v[128:129], s[14:15]
	v_add_f64 v[106:107], v[118:119], v[106:107]
	v_fma_f64 v[145:146], v[124:125], s[28:29], v[141:142]
	v_fma_f64 v[118:119], v[124:125], s[24:25], v[141:142]
	;; [unrolled: 10-line block ×3, first 2 shown]
	v_add_f64 v[118:119], v[118:119], v[104:105]
	v_fma_f64 v[104:105], v[153:154], s[20:21], -v[161:162]
	v_add_f64 v[155:156], v[155:156], v[110:111]
	v_fma_f64 v[110:111], v[153:154], s[20:21], v[161:162]
	v_mul_f64 v[161:162], v[151:152], s[22:23]
	v_add_f64 v[104:105], v[104:105], v[106:107]
	v_add_f64 v[106:107], v[120:121], v[118:119]
	v_mul_f64 v[118:119], v[90:91], s[36:37]
	v_add_f64 v[110:111], v[110:111], v[112:113]
	v_fma_f64 v[112:113], v[159:160], s[36:37], v[163:164]
	v_mul_f64 v[163:164], v[157:158], s[8:9]
	v_fma_f64 v[120:121], v[78:79], s[20:21], v[118:119]
	v_fma_f64 v[118:119], v[78:79], s[20:21], -v[118:119]
	v_add_f64 v[112:113], v[112:113], v[155:156]
	v_add_f64 v[100:101], v[120:121], v[100:101]
	v_mul_f64 v[120:121], v[92:93], s[20:21]
	v_add_f64 v[96:97], v[118:119], v[96:97]
	v_fma_f64 v[130:131], v[80:81], s[16:17], v[120:121]
	v_fma_f64 v[118:119], v[80:81], s[36:37], v[120:121]
	;; [unrolled: 1-line block ×3, first 2 shown]
	v_add_f64 v[98:99], v[130:131], v[98:99]
	v_mul_f64 v[130:131], v[114:115], s[24:25]
	v_add_f64 v[94:95], v[118:119], v[94:95]
	v_fma_f64 v[132:133], v[102:103], s[14:15], v[130:131]
	v_fma_f64 v[118:119], v[102:103], s[14:15], -v[130:131]
	v_add_f64 v[100:101], v[132:133], v[100:101]
	v_mul_f64 v[132:133], v[116:117], s[14:15]
	v_add_f64 v[96:97], v[118:119], v[96:97]
	v_fma_f64 v[139:140], v[108:109], s[28:29], v[132:133]
	v_fma_f64 v[118:119], v[108:109], s[24:25], v[132:133]
	v_add_f64 v[98:99], v[139:140], v[98:99]
	v_mul_f64 v[139:140], v[126:127], s[18:19]
	v_add_f64 v[94:95], v[118:119], v[94:95]
	v_fma_f64 v[141:142], v[122:123], s[0:1], v[139:140]
	v_fma_f64 v[118:119], v[122:123], s[0:1], -v[139:140]
	v_add_f64 v[100:101], v[141:142], v[100:101]
	v_mul_f64 v[141:142], v[128:129], s[0:1]
	v_add_f64 v[96:97], v[118:119], v[96:97]
	v_fma_f64 v[145:146], v[124:125], s[4:5], v[141:142]
	v_fma_f64 v[118:119], v[124:125], s[18:19], v[141:142]
	;; [unrolled: 10-line block ×3, first 2 shown]
	v_add_f64 v[118:119], v[118:119], v[94:95]
	v_fma_f64 v[94:95], v[153:154], s[8:9], -v[161:162]
	v_add_f64 v[155:156], v[155:156], v[98:99]
	v_fma_f64 v[98:99], v[153:154], s[8:9], v[161:162]
	v_mul_f64 v[161:162], v[151:152], s[6:7]
	v_add_f64 v[94:95], v[94:95], v[96:97]
	v_add_f64 v[96:97], v[120:121], v[118:119]
	v_mul_f64 v[118:119], v[90:91], s[4:5]
	v_add_f64 v[98:99], v[98:99], v[100:101]
	v_fma_f64 v[100:101], v[159:160], s[26:27], v[163:164]
	v_mul_f64 v[163:164], v[157:158], s[12:13]
	v_mul_f64 v[90:91], v[90:91], s[24:25]
	v_fma_f64 v[120:121], v[78:79], s[0:1], v[118:119]
	v_fma_f64 v[118:119], v[78:79], s[0:1], -v[118:119]
	v_add_f64 v[100:101], v[100:101], v[155:156]
	v_add_f64 v[88:89], v[120:121], v[88:89]
	v_mul_f64 v[120:121], v[92:93], s[0:1]
	v_add_f64 v[84:85], v[118:119], v[84:85]
	v_mul_f64 v[92:93], v[92:93], s[14:15]
	v_fma_f64 v[130:131], v[80:81], s[18:19], v[120:121]
	v_fma_f64 v[118:119], v[80:81], s[4:5], v[120:121]
	;; [unrolled: 1-line block ×3, first 2 shown]
	v_add_f64 v[86:87], v[130:131], v[86:87]
	v_mul_f64 v[130:131], v[114:115], s[26:27]
	v_add_f64 v[82:83], v[118:119], v[82:83]
	v_mul_f64 v[114:115], v[114:115], s[16:17]
	v_fma_f64 v[132:133], v[102:103], s[8:9], v[130:131]
	v_fma_f64 v[118:119], v[102:103], s[8:9], -v[130:131]
	v_add_f64 v[88:89], v[132:133], v[88:89]
	v_mul_f64 v[132:133], v[116:117], s[8:9]
	v_add_f64 v[84:85], v[118:119], v[84:85]
	v_mul_f64 v[116:117], v[116:117], s[20:21]
	v_fma_f64 v[139:140], v[108:109], s[22:23], v[132:133]
	v_fma_f64 v[118:119], v[108:109], s[26:27], v[132:133]
	v_mul_f64 v[132:133], v[151:152], s[4:5]
	v_add_f64 v[86:87], v[139:140], v[86:87]
	v_mul_f64 v[139:140], v[126:127], s[38:39]
	v_add_f64 v[82:83], v[118:119], v[82:83]
	v_fma_f64 v[141:142], v[122:123], s[34:35], v[139:140]
	v_fma_f64 v[118:119], v[122:123], s[34:35], -v[139:140]
	v_mul_f64 v[139:140], v[157:158], s[0:1]
	v_add_f64 v[88:89], v[141:142], v[88:89]
	v_mul_f64 v[141:142], v[128:129], s[34:35]
	v_add_f64 v[84:85], v[118:119], v[84:85]
	v_fma_f64 v[145:146], v[124:125], s[40:41], v[141:142]
	v_fma_f64 v[118:119], v[124:125], s[38:39], v[141:142]
	v_add_f64 v[86:87], v[145:146], v[86:87]
	v_mul_f64 v[145:146], v[143:144], s[24:25]
	v_add_f64 v[82:83], v[118:119], v[82:83]
	v_fma_f64 v[149:150], v[134:135], s[14:15], v[145:146]
	v_fma_f64 v[118:119], v[134:135], s[14:15], -v[145:146]
	v_add_f64 v[88:89], v[149:150], v[88:89]
	v_mul_f64 v[149:150], v[147:148], s[14:15]
	v_add_f64 v[84:85], v[118:119], v[84:85]
	v_fma_f64 v[118:119], v[136:137], s[24:25], v[149:150]
	v_fma_f64 v[155:156], v[136:137], s[28:29], v[149:150]
	v_add_f64 v[118:119], v[118:119], v[82:83]
	v_fma_f64 v[82:83], v[153:154], s[12:13], -v[161:162]
	v_add_f64 v[155:156], v[155:156], v[86:87]
	v_fma_f64 v[86:87], v[153:154], s[12:13], v[161:162]
	v_add_f64 v[82:83], v[82:83], v[84:85]
	v_add_f64 v[84:85], v[120:121], v[118:119]
	v_fma_f64 v[118:119], v[78:79], s[14:15], v[90:91]
	v_fma_f64 v[78:79], v[78:79], s[14:15], -v[90:91]
	v_fma_f64 v[90:91], v[102:103], s[20:21], -v[114:115]
	v_add_f64 v[86:87], v[86:87], v[88:89]
	v_fma_f64 v[88:89], v[159:160], s[30:31], v[163:164]
	v_add_f64 v[70:71], v[118:119], v[70:71]
	v_fma_f64 v[118:119], v[80:81], s[28:29], v[92:93]
	v_fma_f64 v[80:81], v[80:81], s[24:25], v[92:93]
	v_fma_f64 v[92:93], v[108:109], s[16:17], v[116:117]
	v_add_f64 v[64:65], v[78:79], v[64:65]
	v_add_f64 v[88:89], v[88:89], v[155:156]
	;; [unrolled: 1-line block ×3, first 2 shown]
	v_fma_f64 v[118:119], v[102:103], s[20:21], v[114:115]
	v_add_f64 v[66:67], v[80:81], v[66:67]
	v_add_f64 v[64:65], v[90:91], v[64:65]
	;; [unrolled: 1-line block ×3, first 2 shown]
	v_fma_f64 v[118:119], v[108:109], s[36:37], v[116:117]
	v_add_f64 v[66:67], v[92:93], v[66:67]
	v_add_f64 v[68:69], v[118:119], v[68:69]
	v_mul_f64 v[118:119], v[126:127], s[22:23]
	v_fma_f64 v[120:121], v[122:123], s[8:9], v[118:119]
	v_fma_f64 v[78:79], v[122:123], s[8:9], -v[118:119]
	v_add_f64 v[70:71], v[120:121], v[70:71]
	v_mul_f64 v[120:121], v[128:129], s[8:9]
	v_add_f64 v[64:65], v[78:79], v[64:65]
	v_fma_f64 v[78:79], v[153:154], s[0:1], -v[132:133]
	v_fma_f64 v[126:127], v[124:125], s[26:27], v[120:121]
	v_fma_f64 v[80:81], v[124:125], s[22:23], v[120:121]
	v_add_f64 v[68:69], v[126:127], v[68:69]
	v_mul_f64 v[126:127], v[143:144], s[6:7]
	v_add_f64 v[66:67], v[80:81], v[66:67]
	v_fma_f64 v[80:81], v[159:160], s[4:5], v[139:140]
	v_fma_f64 v[128:129], v[134:135], s[12:13], v[126:127]
	v_fma_f64 v[90:91], v[134:135], s[12:13], -v[126:127]
	v_add_f64 v[70:71], v[128:129], v[70:71]
	v_mul_f64 v[128:129], v[147:148], s[12:13]
	v_add_f64 v[64:65], v[90:91], v[64:65]
	v_fma_f64 v[130:131], v[136:137], s[30:31], v[128:129]
	v_fma_f64 v[92:93], v[136:137], s[6:7], v[128:129]
	v_add_f64 v[64:65], v[78:79], v[64:65]
	v_add_f64 v[130:131], v[130:131], v[68:69]
	v_fma_f64 v[68:69], v[153:154], s[0:1], v[132:133]
	v_add_f64 v[66:67], v[92:93], v[66:67]
	v_add_f64 v[68:69], v[68:69], v[70:71]
	;; [unrolled: 3-line block ×3, first 2 shown]
	ds_write_b128 v75, v[4:7] offset:1248
	ds_write_b128 v75, v[12:15] offset:2496
	;; [unrolled: 1-line block ×12, first 2 shown]
	ds_write_b128 v75, v[16:19]
	s_waitcnt lgkmcnt(0)
	s_barrier
	buffer_gl0_inv
	s_and_saveexec_b32 s0, vcc_lo
	s_cbranch_execz .LBB0_27
; %bb.26:
	v_mul_lo_u32 v2, s3, v76
	v_mul_lo_u32 v3, s2, v77
	v_mad_u64_u32 v[0:1], null, s2, v76, 0
	v_mov_b32_e32 v75, 0
	v_lshlrev_b64 v[8:9], 4, v[72:73]
	v_lshl_add_u32 v28, v74, 4, v138
	v_add_nc_u32_e32 v10, 0x4e, v74
	v_add_nc_u32_e32 v12, 0x9c, v74
	v_lshlrev_b64 v[14:15], 4, v[74:75]
	v_add3_u32 v1, v1, v3, v2
	v_mov_b32_e32 v11, v75
	v_mov_b32_e32 v13, v75
	v_add_nc_u32_e32 v22, 0xea, v74
	v_mov_b32_e32 v23, v75
	v_lshlrev_b64 v[16:17], 4, v[0:1]
	ds_read_b128 v[0:3], v28
	ds_read_b128 v[4:7], v28 offset:1248
	v_add_nc_u32_e32 v24, 0x138, v74
	v_mov_b32_e32 v25, v75
	v_lshlrev_b64 v[22:23], 4, v[22:23]
	v_add_co_u32 v18, vcc_lo, s10, v16
	v_add_co_ci_u32_e32 v19, vcc_lo, s11, v17, vcc_lo
	v_lshlrev_b64 v[16:17], 4, v[10:11]
	v_add_co_u32 v30, vcc_lo, v18, v8
	v_add_co_ci_u32_e32 v31, vcc_lo, v19, v9, vcc_lo
	v_lshlrev_b64 v[18:19], 4, v[12:13]
	v_add_co_u32 v20, vcc_lo, v30, v14
	v_add_co_ci_u32_e32 v21, vcc_lo, v31, v15, vcc_lo
	ds_read_b128 v[8:11], v28 offset:2496
	ds_read_b128 v[12:15], v28 offset:3744
	v_add_co_u32 v16, vcc_lo, v30, v16
	v_add_co_ci_u32_e32 v17, vcc_lo, v31, v17, vcc_lo
	v_add_co_u32 v18, vcc_lo, v30, v18
	v_add_co_ci_u32_e32 v19, vcc_lo, v31, v19, vcc_lo
	;; [unrolled: 2-line block ×3, first 2 shown]
	s_waitcnt lgkmcnt(3)
	global_store_dwordx4 v[20:21], v[0:3], off
	s_waitcnt lgkmcnt(2)
	global_store_dwordx4 v[16:17], v[4:7], off
	;; [unrolled: 2-line block ×4, first 2 shown]
	v_lshlrev_b64 v[0:1], 4, v[24:25]
	v_add_nc_u32_e32 v8, 0x186, v74
	v_mov_b32_e32 v9, v75
	v_add_nc_u32_e32 v10, 0x1d4, v74
	v_mov_b32_e32 v11, v75
	v_add_nc_u32_e32 v22, 0x222, v74
	v_add_co_u32 v16, vcc_lo, v30, v0
	v_add_co_ci_u32_e32 v17, vcc_lo, v31, v1, vcc_lo
	ds_read_b128 v[0:3], v28 offset:4992
	ds_read_b128 v[4:7], v28 offset:6240
	v_lshlrev_b64 v[18:19], 4, v[8:9]
	v_lshlrev_b64 v[20:21], 4, v[10:11]
	ds_read_b128 v[8:11], v28 offset:7488
	ds_read_b128 v[12:15], v28 offset:8736
	v_mov_b32_e32 v23, v75
	v_add_nc_u32_e32 v24, 0x270, v74
	v_add_co_u32 v18, vcc_lo, v30, v18
	v_lshlrev_b64 v[22:23], 4, v[22:23]
	v_add_co_ci_u32_e32 v19, vcc_lo, v31, v19, vcc_lo
	v_add_co_u32 v20, vcc_lo, v30, v20
	v_add_co_ci_u32_e32 v21, vcc_lo, v31, v21, vcc_lo
	v_add_co_u32 v22, vcc_lo, v30, v22
	s_waitcnt lgkmcnt(3)
	global_store_dwordx4 v[16:17], v[0:3], off
	s_waitcnt lgkmcnt(2)
	global_store_dwordx4 v[18:19], v[4:7], off
	v_add_nc_u32_e32 v2, 0x2be, v74
	v_mov_b32_e32 v3, v75
	v_add_co_ci_u32_e32 v23, vcc_lo, v31, v23, vcc_lo
	v_lshlrev_b64 v[0:1], 4, v[24:25]
	s_waitcnt lgkmcnt(1)
	global_store_dwordx4 v[20:21], v[8:11], off
	s_waitcnt lgkmcnt(0)
	global_store_dwordx4 v[22:23], v[12:15], off
	v_lshlrev_b64 v[8:9], 4, v[2:3]
	v_add_nc_u32_e32 v10, 0x30c, v74
	v_mov_b32_e32 v11, v75
	v_add_co_u32 v20, vcc_lo, v30, v0
	v_add_co_ci_u32_e32 v21, vcc_lo, v31, v1, vcc_lo
	v_add_co_u32 v22, vcc_lo, v30, v8
	ds_read_b128 v[0:3], v28 offset:9984
	ds_read_b128 v[4:7], v28 offset:11232
	v_add_co_ci_u32_e32 v23, vcc_lo, v31, v9, vcc_lo
	v_lshlrev_b64 v[26:27], 4, v[10:11]
	ds_read_b128 v[8:11], v28 offset:12480
	ds_read_b128 v[12:15], v28 offset:13728
	;; [unrolled: 1-line block ×3, first 2 shown]
	v_add_nc_u32_e32 v24, 0x35a, v74
	v_add_nc_u32_e32 v74, 0x3a8, v74
	v_add_co_u32 v26, vcc_lo, v30, v26
	v_lshlrev_b64 v[24:25], 4, v[24:25]
	v_lshlrev_b64 v[28:29], 4, v[74:75]
	v_add_co_ci_u32_e32 v27, vcc_lo, v31, v27, vcc_lo
	v_add_co_u32 v24, vcc_lo, v30, v24
	v_add_co_ci_u32_e32 v25, vcc_lo, v31, v25, vcc_lo
	v_add_co_u32 v28, vcc_lo, v30, v28
	v_add_co_ci_u32_e32 v29, vcc_lo, v31, v29, vcc_lo
	s_waitcnt lgkmcnt(4)
	global_store_dwordx4 v[20:21], v[0:3], off
	s_waitcnt lgkmcnt(3)
	global_store_dwordx4 v[22:23], v[4:7], off
	s_waitcnt lgkmcnt(2)
	global_store_dwordx4 v[26:27], v[8:11], off
	s_waitcnt lgkmcnt(1)
	global_store_dwordx4 v[24:25], v[12:15], off
	s_waitcnt lgkmcnt(0)
	global_store_dwordx4 v[28:29], v[16:19], off
.LBB0_27:
	s_endpgm
	.section	.rodata,"a",@progbits
	.p2align	6, 0x0
	.amdhsa_kernel fft_rtc_back_len1014_factors_13_6_13_wgs_156_tpt_78_dp_op_CI_CI_unitstride_sbrr_C2R_dirReg
		.amdhsa_group_segment_fixed_size 0
		.amdhsa_private_segment_fixed_size 0
		.amdhsa_kernarg_size 104
		.amdhsa_user_sgpr_count 6
		.amdhsa_user_sgpr_private_segment_buffer 1
		.amdhsa_user_sgpr_dispatch_ptr 0
		.amdhsa_user_sgpr_queue_ptr 0
		.amdhsa_user_sgpr_kernarg_segment_ptr 1
		.amdhsa_user_sgpr_dispatch_id 0
		.amdhsa_user_sgpr_flat_scratch_init 0
		.amdhsa_user_sgpr_private_segment_size 0
		.amdhsa_wavefront_size32 1
		.amdhsa_uses_dynamic_stack 0
		.amdhsa_system_sgpr_private_segment_wavefront_offset 0
		.amdhsa_system_sgpr_workgroup_id_x 1
		.amdhsa_system_sgpr_workgroup_id_y 0
		.amdhsa_system_sgpr_workgroup_id_z 0
		.amdhsa_system_sgpr_workgroup_info 0
		.amdhsa_system_vgpr_workitem_id 0
		.amdhsa_next_free_vgpr 191
		.amdhsa_next_free_sgpr 44
		.amdhsa_reserve_vcc 1
		.amdhsa_reserve_flat_scratch 0
		.amdhsa_float_round_mode_32 0
		.amdhsa_float_round_mode_16_64 0
		.amdhsa_float_denorm_mode_32 3
		.amdhsa_float_denorm_mode_16_64 3
		.amdhsa_dx10_clamp 1
		.amdhsa_ieee_mode 1
		.amdhsa_fp16_overflow 0
		.amdhsa_workgroup_processor_mode 1
		.amdhsa_memory_ordered 1
		.amdhsa_forward_progress 0
		.amdhsa_shared_vgpr_count 0
		.amdhsa_exception_fp_ieee_invalid_op 0
		.amdhsa_exception_fp_denorm_src 0
		.amdhsa_exception_fp_ieee_div_zero 0
		.amdhsa_exception_fp_ieee_overflow 0
		.amdhsa_exception_fp_ieee_underflow 0
		.amdhsa_exception_fp_ieee_inexact 0
		.amdhsa_exception_int_div_zero 0
	.end_amdhsa_kernel
	.text
.Lfunc_end0:
	.size	fft_rtc_back_len1014_factors_13_6_13_wgs_156_tpt_78_dp_op_CI_CI_unitstride_sbrr_C2R_dirReg, .Lfunc_end0-fft_rtc_back_len1014_factors_13_6_13_wgs_156_tpt_78_dp_op_CI_CI_unitstride_sbrr_C2R_dirReg
                                        ; -- End function
	.section	.AMDGPU.csdata,"",@progbits
; Kernel info:
; codeLenInByte = 14476
; NumSgprs: 46
; NumVgprs: 191
; ScratchSize: 0
; MemoryBound: 0
; FloatMode: 240
; IeeeMode: 1
; LDSByteSize: 0 bytes/workgroup (compile time only)
; SGPRBlocks: 5
; VGPRBlocks: 23
; NumSGPRsForWavesPerEU: 46
; NumVGPRsForWavesPerEU: 191
; Occupancy: 5
; WaveLimiterHint : 1
; COMPUTE_PGM_RSRC2:SCRATCH_EN: 0
; COMPUTE_PGM_RSRC2:USER_SGPR: 6
; COMPUTE_PGM_RSRC2:TRAP_HANDLER: 0
; COMPUTE_PGM_RSRC2:TGID_X_EN: 1
; COMPUTE_PGM_RSRC2:TGID_Y_EN: 0
; COMPUTE_PGM_RSRC2:TGID_Z_EN: 0
; COMPUTE_PGM_RSRC2:TIDIG_COMP_CNT: 0
	.text
	.p2alignl 6, 3214868480
	.fill 48, 4, 3214868480
	.type	__hip_cuid_ed47c42922d6da33,@object ; @__hip_cuid_ed47c42922d6da33
	.section	.bss,"aw",@nobits
	.globl	__hip_cuid_ed47c42922d6da33
__hip_cuid_ed47c42922d6da33:
	.byte	0                               ; 0x0
	.size	__hip_cuid_ed47c42922d6da33, 1

	.ident	"AMD clang version 19.0.0git (https://github.com/RadeonOpenCompute/llvm-project roc-6.4.0 25133 c7fe45cf4b819c5991fe208aaa96edf142730f1d)"
	.section	".note.GNU-stack","",@progbits
	.addrsig
	.addrsig_sym __hip_cuid_ed47c42922d6da33
	.amdgpu_metadata
---
amdhsa.kernels:
  - .args:
      - .actual_access:  read_only
        .address_space:  global
        .offset:         0
        .size:           8
        .value_kind:     global_buffer
      - .offset:         8
        .size:           8
        .value_kind:     by_value
      - .actual_access:  read_only
        .address_space:  global
        .offset:         16
        .size:           8
        .value_kind:     global_buffer
      - .actual_access:  read_only
        .address_space:  global
        .offset:         24
        .size:           8
        .value_kind:     global_buffer
      - .actual_access:  read_only
        .address_space:  global
        .offset:         32
        .size:           8
        .value_kind:     global_buffer
      - .offset:         40
        .size:           8
        .value_kind:     by_value
      - .actual_access:  read_only
        .address_space:  global
        .offset:         48
        .size:           8
        .value_kind:     global_buffer
      - .actual_access:  read_only
        .address_space:  global
        .offset:         56
        .size:           8
        .value_kind:     global_buffer
      - .offset:         64
        .size:           4
        .value_kind:     by_value
      - .actual_access:  read_only
        .address_space:  global
        .offset:         72
        .size:           8
        .value_kind:     global_buffer
      - .actual_access:  read_only
        .address_space:  global
        .offset:         80
        .size:           8
        .value_kind:     global_buffer
      - .actual_access:  read_only
        .address_space:  global
        .offset:         88
        .size:           8
        .value_kind:     global_buffer
      - .actual_access:  write_only
        .address_space:  global
        .offset:         96
        .size:           8
        .value_kind:     global_buffer
    .group_segment_fixed_size: 0
    .kernarg_segment_align: 8
    .kernarg_segment_size: 104
    .language:       OpenCL C
    .language_version:
      - 2
      - 0
    .max_flat_workgroup_size: 156
    .name:           fft_rtc_back_len1014_factors_13_6_13_wgs_156_tpt_78_dp_op_CI_CI_unitstride_sbrr_C2R_dirReg
    .private_segment_fixed_size: 0
    .sgpr_count:     46
    .sgpr_spill_count: 0
    .symbol:         fft_rtc_back_len1014_factors_13_6_13_wgs_156_tpt_78_dp_op_CI_CI_unitstride_sbrr_C2R_dirReg.kd
    .uniform_work_group_size: 1
    .uses_dynamic_stack: false
    .vgpr_count:     191
    .vgpr_spill_count: 0
    .wavefront_size: 32
    .workgroup_processor_mode: 1
amdhsa.target:   amdgcn-amd-amdhsa--gfx1030
amdhsa.version:
  - 1
  - 2
...

	.end_amdgpu_metadata
